;; amdgpu-corpus repo=ROCm/rocFFT kind=compiled arch=gfx1201 opt=O3
	.text
	.amdgcn_target "amdgcn-amd-amdhsa--gfx1201"
	.amdhsa_code_object_version 6
	.protected	bluestein_single_back_len2016_dim1_dp_op_CI_CI ; -- Begin function bluestein_single_back_len2016_dim1_dp_op_CI_CI
	.globl	bluestein_single_back_len2016_dim1_dp_op_CI_CI
	.p2align	8
	.type	bluestein_single_back_len2016_dim1_dp_op_CI_CI,@function
bluestein_single_back_len2016_dim1_dp_op_CI_CI: ; @bluestein_single_back_len2016_dim1_dp_op_CI_CI
; %bb.0:
	s_load_b128 s[12:15], s[0:1], 0x28
	v_mul_u32_u24_e32 v1, 0x24a, v0
	v_mov_b32_e32 v8, 0
	s_mov_b32 s2, exec_lo
	s_delay_alu instid0(VALU_DEP_2) | instskip(NEXT) | instid1(VALU_DEP_1)
	v_lshrrev_b32_e32 v1, 16, v1
	v_lshl_add_u32 v7, ttmp9, 1, v1
	s_wait_kmcnt 0x0
	s_delay_alu instid0(VALU_DEP_1)
	v_cmpx_gt_u64_e64 s[12:13], v[7:8]
	s_cbranch_execz .LBB0_10
; %bb.1:
	s_clause 0x1
	s_load_b128 s[4:7], s[0:1], 0x18
	s_load_b128 s[8:11], s[0:1], 0x0
	v_mul_lo_u16 v2, 0x70, v1
	s_mov_b32 s13, 0xbfebb67a
                                        ; implicit-def: $vgpr252_vgpr253
                                        ; implicit-def: $vgpr160_vgpr161
                                        ; implicit-def: $vgpr164_vgpr165
	s_delay_alu instid0(VALU_DEP_1) | instskip(NEXT) | instid1(VALU_DEP_1)
	v_sub_nc_u16 v6, v0, v2
	v_and_b32_e32 v70, 0xffff, v6
	s_wait_kmcnt 0x0
	s_load_b128 s[16:19], s[4:5], 0x0
	s_movk_i32 s4, 0xc800
	s_mov_b32 s5, -1
	s_wait_kmcnt 0x0
	v_mad_co_u64_u32 v[2:3], null, s18, v7, 0
	v_mad_co_u64_u32 v[4:5], null, s16, v70, 0
	s_mul_u64 s[2:3], s[16:17], 0x3f00
	s_mul_u64 s[4:5], s[16:17], s[4:5]
	s_delay_alu instid0(VALU_DEP_1) | instskip(SKIP_2) | instid1(VALU_DEP_3)
	v_dual_mov_b32 v0, v3 :: v_dual_mov_b32 v3, v5
	v_mov_b32_e32 v5, v7
	v_or_b32_e32 v10, 0x700, v70
	v_mad_co_u64_u32 v[7:8], null, s19, v7, v[0:1]
	s_delay_alu instid0(VALU_DEP_4)
	v_mad_co_u64_u32 v[8:9], null, s17, v70, v[3:4]
	v_or_b32_e32 v96, 0x380, v70
	s_clause 0x1
	scratch_store_b64 off, v[5:6], off
	scratch_store_b32 off, v10, off offset:8
	v_mad_co_u64_u32 v[12:13], null, s16, v96, 0
	v_mov_b32_e32 v5, v8
	v_mad_co_u64_u32 v[8:9], null, s16, v10, 0
	v_mov_b32_e32 v3, v7
	v_lshlrev_b32_e32 v7, 4, v70
	global_load_b128 v[38:41], v7, s[8:9]
	v_mov_b32_e32 v0, v9
	v_lshlrev_b64_e32 v[2:3], 4, v[2:3]
	s_delay_alu instid0(VALU_DEP_2) | instskip(SKIP_2) | instid1(VALU_DEP_4)
	v_mad_co_u64_u32 v[9:10], null, s17, v10, v[0:1]
	v_mov_b32_e32 v0, v13
	v_lshlrev_b64_e32 v[4:5], 4, v[4:5]
	v_add_co_u32 v15, vcc_lo, s14, v2
	v_add_co_ci_u32_e32 v18, vcc_lo, s15, v3, vcc_lo
	v_lshlrev_b64_e32 v[8:9], 4, v[8:9]
	s_delay_alu instid0(VALU_DEP_3) | instskip(SKIP_1) | instid1(VALU_DEP_3)
	v_add_co_u32 v16, vcc_lo, v15, v4
	s_wait_alu 0xfffd
	v_add_co_ci_u32_e32 v17, vcc_lo, v18, v5, vcc_lo
	v_mad_co_u64_u32 v[13:14], null, s17, v96, v[0:1]
	s_delay_alu instid0(VALU_DEP_4)
	v_add_co_u32 v8, vcc_lo, v15, v8
	global_load_b128 v[2:5], v[16:17], off
	s_wait_alu 0xfffd
	v_add_co_ci_u32_e32 v9, vcc_lo, v18, v9, vcc_lo
	global_load_b128 v[34:37], v7, s[8:9] offset:28672
	global_load_b128 v[8:11], v[8:9], off
	v_lshlrev_b64_e32 v[12:13], 4, v[12:13]
	s_delay_alu instid0(VALU_DEP_1) | instskip(SKIP_1) | instid1(VALU_DEP_2)
	v_add_co_u32 v12, vcc_lo, v15, v12
	s_wait_alu 0xfffd
	v_add_co_ci_u32_e32 v13, vcc_lo, v18, v13, vcc_lo
	global_load_b128 v[42:45], v7, s[8:9] offset:14336
	global_load_b128 v[12:15], v[12:13], off
	v_add_co_u32 v20, vcc_lo, v16, s2
	s_wait_alu 0xfffd
	v_add_co_ci_u32_e32 v21, vcc_lo, s3, v17, vcc_lo
	global_load_b128 v[46:49], v7, s[8:9] offset:16128
	global_load_b128 v[16:19], v[20:21], off
	;; [unrolled: 5-line block ×4, first 2 shown]
	global_load_b128 v[83:86], v7, s[8:9] offset:30464
	s_wait_loadcnt 0xc
	scratch_store_b128 off, v[38:41], off offset:32 ; 16-byte Folded Spill
	s_wait_loadcnt 0xb
	v_mul_f64_e32 v[30:31], v[4:5], v[40:41]
	v_mul_f64_e32 v[32:33], v[2:3], v[40:41]
	s_wait_loadcnt 0xa
	scratch_store_b128 off, v[34:37], off offset:16 ; 16-byte Folded Spill
	s_wait_loadcnt 0x8
	scratch_store_b128 off, v[42:45], off offset:48 ; 16-byte Folded Spill
	s_wait_loadcnt 0x6
	scratch_store_b128 off, v[46:49], off offset:80 ; 16-byte Folded Spill
	s_wait_loadcnt 0x4
	scratch_store_b128 off, v[50:53], off offset:96 ; 16-byte Folded Spill
	v_fma_f64 v[2:3], v[2:3], v[38:39], v[30:31]
	v_mul_f64_e32 v[30:31], v[10:11], v[36:37]
	v_fma_f64 v[4:5], v[4:5], v[38:39], -v[32:33]
	v_mul_f64_e32 v[32:33], v[8:9], v[36:37]
	s_wait_loadcnt 0x1
	v_mul_f64_e32 v[36:37], v[24:25], v[56:57]
	s_delay_alu instid0(VALU_DEP_4) | instskip(SKIP_1) | instid1(VALU_DEP_4)
	v_fma_f64 v[8:9], v[8:9], v[34:35], v[30:31]
	v_mul_f64_e32 v[30:31], v[14:15], v[44:45]
	v_fma_f64 v[10:11], v[10:11], v[34:35], -v[32:33]
	v_mul_f64_e32 v[32:33], v[12:13], v[44:45]
	v_add_co_u32 v34, vcc_lo, v28, s4
	s_wait_alu 0xfffd
	v_add_co_ci_u32_e32 v35, vcc_lo, s5, v29, vcc_lo
	v_fma_f64 v[12:13], v[12:13], v[42:43], v[30:31]
	v_mul_f64_e32 v[30:31], v[18:19], v[48:49]
	v_fma_f64 v[14:15], v[14:15], v[42:43], -v[32:33]
	v_mul_f64_e32 v[32:33], v[16:17], v[48:49]
	s_delay_alu instid0(VALU_DEP_3) | instskip(SKIP_1) | instid1(VALU_DEP_3)
	v_fma_f64 v[16:17], v[16:17], v[46:47], v[30:31]
	v_mul_f64_e32 v[30:31], v[22:23], v[52:53]
	v_fma_f64 v[18:19], v[18:19], v[46:47], -v[32:33]
	v_mul_f64_e32 v[32:33], v[20:21], v[52:53]
	s_delay_alu instid0(VALU_DEP_3)
	v_fma_f64 v[20:21], v[20:21], v[50:51], v[30:31]
	global_load_b128 v[42:45], v7, s[8:9] offset:19712
	global_load_b128 v[28:31], v[34:35], off
	scratch_store_b128 off, v[54:57], off offset:112 ; 16-byte Folded Spill
	s_clause 0x1
	global_load_b128 v[38:41], v7, s[8:9] offset:3584
	global_load_b128 v[46:49], v7, s[8:9] offset:5376
	v_fma_f64 v[22:23], v[22:23], v[50:51], -v[32:33]
	v_mul_f64_e32 v[32:33], v[26:27], v[56:57]
	v_fma_f64 v[26:27], v[26:27], v[54:55], -v[36:37]
	s_delay_alu instid0(VALU_DEP_2)
	v_fma_f64 v[24:25], v[24:25], v[54:55], v[32:33]
	s_wait_loadcnt 0x3
	scratch_store_b128 off, v[42:45], off offset:224 ; 16-byte Folded Spill
	s_wait_loadcnt 0x1
	v_mul_f64_e32 v[36:37], v[28:29], v[40:41]
	s_wait_loadcnt 0x0
	scratch_store_b128 off, v[46:49], off offset:240 ; 16-byte Folded Spill
	v_mul_f64_e32 v[32:33], v[30:31], v[40:41]
	scratch_store_b128 off, v[38:41], off offset:256 ; 16-byte Folded Spill
	v_fma_f64 v[30:31], v[30:31], v[38:39], -v[36:37]
	v_add_co_u32 v36, vcc_lo, v34, s2
	s_wait_alu 0xfffd
	v_add_co_ci_u32_e32 v37, vcc_lo, s3, v35, vcc_lo
	v_fma_f64 v[28:29], v[28:29], v[38:39], v[32:33]
	global_load_b128 v[32:35], v[36:37], off
	s_wait_loadcnt 0x0
	v_mul_f64_e32 v[40:41], v[32:33], v[44:45]
	v_mul_f64_e32 v[38:39], v[34:35], v[44:45]
	s_delay_alu instid0(VALU_DEP_2) | instskip(SKIP_3) | instid1(VALU_DEP_4)
	v_fma_f64 v[34:35], v[34:35], v[42:43], -v[40:41]
	v_add_co_u32 v40, vcc_lo, v36, s4
	s_wait_alu 0xfffd
	v_add_co_ci_u32_e32 v41, vcc_lo, s5, v37, vcc_lo
	v_fma_f64 v[32:33], v[32:33], v[42:43], v[38:39]
	global_load_b128 v[36:39], v[40:41], off
	s_wait_loadcnt 0x0
	v_mul_f64_e32 v[44:45], v[36:37], v[48:49]
	v_mul_f64_e32 v[42:43], v[38:39], v[48:49]
	s_delay_alu instid0(VALU_DEP_2) | instskip(SKIP_3) | instid1(VALU_DEP_4)
	v_fma_f64 v[38:39], v[38:39], v[46:47], -v[44:45]
	v_add_co_u32 v44, vcc_lo, v40, s2
	s_wait_alu 0xfffd
	v_add_co_ci_u32_e32 v45, vcc_lo, s3, v41, vcc_lo
	v_fma_f64 v[36:37], v[36:37], v[46:47], v[42:43]
	global_load_b128 v[40:43], v[44:45], off
	s_clause 0x1
	global_load_b128 v[50:53], v7, s[8:9] offset:21504
	global_load_b128 v[58:61], v7, s[8:9] offset:23296
	s_wait_loadcnt 0x1
	v_mul_f64_e32 v[48:49], v[40:41], v[52:53]
	v_mul_f64_e32 v[46:47], v[42:43], v[52:53]
	scratch_store_b128 off, v[50:53], off offset:288 ; 16-byte Folded Spill
	v_fma_f64 v[42:43], v[42:43], v[50:51], -v[48:49]
	v_add_co_u32 v48, vcc_lo, v44, s4
	s_wait_alu 0xfffd
	v_add_co_ci_u32_e32 v49, vcc_lo, s5, v45, vcc_lo
	v_fma_f64 v[40:41], v[40:41], v[50:51], v[46:47]
	global_load_b128 v[44:47], v[48:49], off
	s_clause 0x1
	global_load_b128 v[54:57], v7, s[8:9] offset:7168
	global_load_b128 v[62:65], v7, s[8:9] offset:8960
	s_wait_loadcnt 0x3
	scratch_store_b128 off, v[58:61], off offset:160 ; 16-byte Folded Spill
	s_wait_loadcnt 0x1
	v_mul_f64_e32 v[52:53], v[44:45], v[56:57]
	s_wait_loadcnt 0x0
	scratch_store_b128 off, v[62:65], off offset:128 ; 16-byte Folded Spill
	v_mul_f64_e32 v[50:51], v[46:47], v[56:57]
	scratch_store_b128 off, v[54:57], off offset:272 ; 16-byte Folded Spill
	v_fma_f64 v[46:47], v[46:47], v[54:55], -v[52:53]
	v_add_co_u32 v52, vcc_lo, v48, s2
	s_wait_alu 0xfffd
	v_add_co_ci_u32_e32 v53, vcc_lo, s3, v49, vcc_lo
	v_fma_f64 v[44:45], v[44:45], v[54:55], v[50:51]
	global_load_b128 v[48:51], v[52:53], off
	s_wait_loadcnt 0x0
	v_mul_f64_e32 v[56:57], v[48:49], v[60:61]
	v_mul_f64_e32 v[54:55], v[50:51], v[60:61]
	s_delay_alu instid0(VALU_DEP_2) | instskip(SKIP_3) | instid1(VALU_DEP_4)
	v_fma_f64 v[50:51], v[50:51], v[58:59], -v[56:57]
	v_add_co_u32 v56, vcc_lo, v52, s4
	s_wait_alu 0xfffd
	v_add_co_ci_u32_e32 v57, vcc_lo, s5, v53, vcc_lo
	v_fma_f64 v[48:49], v[48:49], v[58:59], v[54:55]
	global_load_b128 v[52:55], v[56:57], off
	s_wait_loadcnt 0x0
	v_mul_f64_e32 v[60:61], v[52:53], v[64:65]
	v_mul_f64_e32 v[58:59], v[54:55], v[64:65]
	s_delay_alu instid0(VALU_DEP_2) | instskip(SKIP_3) | instid1(VALU_DEP_4)
	v_fma_f64 v[54:55], v[54:55], v[62:63], -v[60:61]
	v_add_co_u32 v60, vcc_lo, v56, s2
	s_wait_alu 0xfffd
	v_add_co_ci_u32_e32 v61, vcc_lo, s3, v57, vcc_lo
	v_fma_f64 v[52:53], v[52:53], v[62:63], v[58:59]
	global_load_b128 v[56:59], v[60:61], off
	s_clause 0x1
	global_load_b128 v[66:69], v7, s[8:9] offset:25088
	global_load_b128 v[75:78], v7, s[8:9] offset:26880
	s_wait_loadcnt 0x1
	v_mul_f64_e32 v[64:65], v[56:57], v[68:69]
	v_mul_f64_e32 v[62:63], v[58:59], v[68:69]
	scratch_store_b128 off, v[66:69], off offset:192 ; 16-byte Folded Spill
	v_fma_f64 v[58:59], v[58:59], v[66:67], -v[64:65]
	v_add_co_u32 v64, vcc_lo, v60, s4
	s_wait_alu 0xfffd
	v_add_co_ci_u32_e32 v65, vcc_lo, s5, v61, vcc_lo
	v_fma_f64 v[56:57], v[56:57], v[66:67], v[62:63]
	global_load_b128 v[60:63], v[64:65], off
	s_clause 0x1
	global_load_b128 v[71:74], v7, s[8:9] offset:10752
	global_load_b128 v[79:82], v7, s[8:9] offset:12544
	s_wait_loadcnt 0x3
	s_clause 0x1
	scratch_store_b128 off, v[75:78], off offset:176
	scratch_store_b128 off, v[83:86], off offset:64
	s_wait_loadcnt 0x1
	v_mul_f64_e32 v[68:69], v[60:61], v[73:74]
	v_mul_f64_e32 v[66:67], v[62:63], v[73:74]
	scratch_store_b128 off, v[71:74], off offset:208 ; 16-byte Folded Spill
	s_wait_loadcnt 0x0
	scratch_store_b128 off, v[79:82], off offset:144 ; 16-byte Folded Spill
	v_fma_f64 v[62:63], v[62:63], v[71:72], -v[68:69]
	v_add_co_u32 v68, vcc_lo, v64, s2
	s_wait_alu 0xfffd
	v_add_co_ci_u32_e32 v69, vcc_lo, s3, v65, vcc_lo
	v_fma_f64 v[60:61], v[60:61], v[71:72], v[66:67]
	s_mov_b32 s2, 0xe8584caa
	s_mov_b32 s3, 0x3febb67a
	global_load_b128 v[64:67], v[68:69], off
	v_add_co_u32 v68, vcc_lo, v68, s4
	s_wait_alu 0xfffd
	v_add_co_ci_u32_e32 v69, vcc_lo, s5, v69, vcc_lo
	s_wait_alu 0xfffe
	s_mov_b32 s12, s2
	s_wait_loadcnt 0x0
	v_mul_f64_e32 v[71:72], v[66:67], v[77:78]
	v_mul_f64_e32 v[73:74], v[64:65], v[77:78]
	s_delay_alu instid0(VALU_DEP_2) | instskip(NEXT) | instid1(VALU_DEP_2)
	v_fma_f64 v[64:65], v[64:65], v[75:76], v[71:72]
	v_fma_f64 v[66:67], v[66:67], v[75:76], -v[73:74]
	global_load_b128 v[71:74], v[68:69], off
	v_mad_co_u64_u32 v[68:69], null, 0x4600, s16, v[68:69]
	s_delay_alu instid0(VALU_DEP_1) | instskip(SKIP_3) | instid1(VALU_DEP_2)
	v_mov_b32_e32 v0, v69
	s_wait_loadcnt 0x0
	v_mul_f64_e32 v[75:76], v[73:74], v[81:82]
	v_mul_f64_e32 v[77:78], v[71:72], v[81:82]
	v_fma_f64 v[75:76], v[71:72], v[79:80], v[75:76]
	v_mad_co_u64_u32 v[71:72], null, 0x4600, s17, v[0:1]
	s_delay_alu instid0(VALU_DEP_3) | instskip(NEXT) | instid1(VALU_DEP_2)
	v_fma_f64 v[77:78], v[73:74], v[79:80], -v[77:78]
	v_dual_mov_b32 v69, v71 :: v_dual_and_b32 v0, 1, v1
	s_delay_alu instid0(VALU_DEP_1) | instskip(SKIP_4) | instid1(VALU_DEP_2)
	v_cmp_eq_u32_e32 vcc_lo, 1, v0
	global_load_b128 v[71:74], v[68:69], off
	s_wait_alu 0xfffd
	v_cndmask_b32_e64 v0, 0, 0x7e0, vcc_lo
	v_cmp_gt_u16_e32 vcc_lo, 0x60, v6
	v_lshlrev_b32_e32 v0, 4, v0
	s_wait_loadcnt 0x0
	v_mul_f64_e32 v[68:69], v[73:74], v[85:86]
	v_mul_f64_e32 v[81:82], v[71:72], v[85:86]
	s_delay_alu instid0(VALU_DEP_2) | instskip(NEXT) | instid1(VALU_DEP_2)
	v_fma_f64 v[79:80], v[71:72], v[83:84], v[68:69]
	v_fma_f64 v[81:82], v[73:74], v[83:84], -v[81:82]
	v_add_nc_u32_e32 v71, v0, v7
	ds_store_b128 v71, v[12:15] offset:14336
	ds_store_b128 v71, v[16:19] offset:16128
	ds_store_b128 v71, v[2:5]
	ds_store_b128 v71, v[20:23] offset:1792
	ds_store_b128 v71, v[24:27] offset:17920
	;; [unrolled: 1-line block ×15, first 2 shown]
	s_load_b128 s[4:7], s[6:7], 0x0
	global_wb scope:SCOPE_SE
	s_wait_storecnt_dscnt 0x0
	s_wait_kmcnt 0x0
	s_barrier_signal -1
	s_barrier_wait -1
	global_inv scope:SCOPE_SE
	ds_load_b128 v[1:4], v71 offset:16128
	ds_load_b128 v[8:11], v71
	ds_load_b128 v[12:15], v71 offset:1792
	ds_load_b128 v[16:19], v71 offset:14336
	;; [unrolled: 1-line block ×16, first 2 shown]
	v_lshl_add_u32 v5, v70, 5, v0
	global_wb scope:SCOPE_SE
	s_wait_dscnt 0x0
	s_barrier_signal -1
	s_barrier_wait -1
	global_inv scope:SCOPE_SE
	v_add_f64_e64 v[1:2], v[8:9], -v[1:2]
	v_add_f64_e64 v[3:4], v[10:11], -v[3:4]
	;; [unrolled: 1-line block ×18, first 2 shown]
	v_fma_f64 v[8:9], v[8:9], 2.0, -v[1:2]
	v_fma_f64 v[10:11], v[10:11], 2.0, -v[3:4]
	;; [unrolled: 1-line block ×12, first 2 shown]
	v_add_co_u32 v12, null, 0x70, v70
	v_fma_f64 v[60:61], v[60:61], 2.0, -v[56:57]
	v_fma_f64 v[62:63], v[62:63], 2.0, -v[58:59]
	ds_store_b128 v5, v[1:4] offset:16
	v_lshl_add_u32 v1, v12, 5, v0
	v_fma_f64 v[64:65], v[64:65], 2.0, -v[72:73]
	v_fma_f64 v[66:67], v[66:67], 2.0, -v[74:75]
	;; [unrolled: 1-line block ×4, first 2 shown]
	scratch_store_b32 off, v1, off offset:332 ; 4-byte Folded Spill
	v_lshlrev_b32_e32 v3, 1, v70
	v_and_b32_e32 v17, 1, v70
	ds_store_b128 v5, v[8:11]
	v_add_co_u32 v8, null, 0xe0, v70
	ds_store_b128 v1, v[80:83]
	ds_store_b128 v1, v[20:23] offset:16
	v_add_co_u32 v11, null, 0x150, v70
	v_lshl_add_u32 v1, v8, 5, v0
	v_add_co_u32 v10, null, 0x1c0, v70
	v_add_co_u32 v9, null, 0x230, v70
	ds_store_b128 v1, v[28:31]
	ds_store_b128 v1, v[24:27] offset:16
	scratch_store_b32 off, v1, off offset:328 ; 4-byte Folded Spill
	v_lshl_add_u32 v1, v11, 5, v0
	ds_store_b128 v1, v[32:35]
	ds_store_b128 v1, v[36:39] offset:16
	scratch_store_b32 off, v1, off offset:324 ; 4-byte Folded Spill
	v_lshl_add_u32 v1, v10, 5, v0
	ds_store_b128 v1, v[44:47]
	ds_store_b128 v1, v[40:43] offset:16
	scratch_store_b32 off, v1, off offset:320 ; 4-byte Folded Spill
	v_lshl_add_u32 v1, v9, 5, v0
	ds_store_b128 v1, v[48:51]
	ds_store_b128 v1, v[52:55] offset:16
	scratch_store_b32 off, v1, off offset:316 ; 4-byte Folded Spill
	v_add_nc_u32_e32 v1, 0x540, v3
	s_delay_alu instid0(VALU_DEP_1) | instskip(SKIP_4) | instid1(VALU_DEP_1)
	v_lshl_add_u32 v2, v1, 4, v0
	ds_store_b128 v2, v[60:63]
	ds_store_b128 v2, v[56:59] offset:16
	scratch_store_b32 off, v2, off offset:312 ; 4-byte Folded Spill
	v_add_nc_u32_e32 v2, 0x620, v3
	v_lshl_add_u32 v4, v2, 4, v0
	ds_store_b128 v4, v[64:67]
	ds_store_b128 v4, v[72:75] offset:16
	scratch_store_b32 off, v4, off offset:308 ; 4-byte Folded Spill
	v_lshl_add_u32 v4, v96, 5, v0
	s_clause 0x1
	scratch_store_b32 off, v5, off offset:336
	scratch_store_b32 off, v4, off offset:304
	ds_store_b128 v4, v[13:16]
	ds_store_b128 v4, v[76:79] offset:16
	v_lshlrev_b32_e32 v4, 4, v17
	global_wb scope:SCOPE_SE
	s_wait_storecnt_dscnt 0x0
	s_barrier_signal -1
	s_barrier_wait -1
	global_inv scope:SCOPE_SE
	global_load_b128 v[72:75], v4, s[10:11]
	ds_load_b128 v[76:79], v71 offset:16128
	ds_load_b128 v[13:16], v71 offset:14336
	s_wait_loadcnt_dscnt 0x1
	v_mul_f64_e32 v[18:19], v[76:77], v[74:75]
	v_mul_f64_e32 v[4:5], v[78:79], v[74:75]
	s_delay_alu instid0(VALU_DEP_2)
	v_fma_f64 v[28:29], v[78:79], v[72:73], v[18:19]
	ds_load_b128 v[18:21], v71 offset:17920
	ds_load_b128 v[22:25], v71 offset:19712
	v_fma_f64 v[4:5], v[76:77], v[72:73], -v[4:5]
	s_wait_dscnt 0x1
	v_mul_f64_e32 v[26:27], v[20:21], v[74:75]
	s_delay_alu instid0(VALU_DEP_1) | instskip(SKIP_1) | instid1(VALU_DEP_1)
	v_fma_f64 v[30:31], v[18:19], v[72:73], -v[26:27]
	v_mul_f64_e32 v[18:19], v[18:19], v[74:75]
	v_fma_f64 v[32:33], v[20:21], v[72:73], v[18:19]
	s_wait_dscnt 0x0
	v_mul_f64_e32 v[18:19], v[24:25], v[74:75]
	s_delay_alu instid0(VALU_DEP_1) | instskip(SKIP_1) | instid1(VALU_DEP_1)
	v_fma_f64 v[42:43], v[22:23], v[72:73], -v[18:19]
	v_mul_f64_e32 v[18:19], v[22:23], v[74:75]
	v_fma_f64 v[44:45], v[24:25], v[72:73], v[18:19]
	ds_load_b128 v[18:21], v71 offset:21504
	ds_load_b128 v[22:25], v71 offset:23296
	s_wait_dscnt 0x1
	v_mul_f64_e32 v[26:27], v[20:21], v[74:75]
	s_delay_alu instid0(VALU_DEP_1) | instskip(SKIP_1) | instid1(VALU_DEP_1)
	v_fma_f64 v[46:47], v[18:19], v[72:73], -v[26:27]
	v_mul_f64_e32 v[18:19], v[18:19], v[74:75]
	v_fma_f64 v[48:49], v[20:21], v[72:73], v[18:19]
	s_wait_dscnt 0x0
	v_mul_f64_e32 v[18:19], v[24:25], v[74:75]
	s_delay_alu instid0(VALU_DEP_1) | instskip(SKIP_1) | instid1(VALU_DEP_1)
	v_fma_f64 v[58:59], v[22:23], v[72:73], -v[18:19]
	v_mul_f64_e32 v[18:19], v[22:23], v[74:75]
	v_fma_f64 v[60:61], v[24:25], v[72:73], v[18:19]
	ds_load_b128 v[18:21], v71 offset:25088
	ds_load_b128 v[22:25], v71 offset:26880
	;; [unrolled: 14-line block ×3, first 2 shown]
	s_wait_dscnt 0x1
	v_mul_f64_e32 v[26:27], v[20:21], v[74:75]
	s_delay_alu instid0(VALU_DEP_1) | instskip(SKIP_1) | instid1(VALU_DEP_1)
	v_fma_f64 v[84:85], v[18:19], v[72:73], -v[26:27]
	v_mul_f64_e32 v[18:19], v[18:19], v[74:75]
	v_fma_f64 v[86:87], v[20:21], v[72:73], v[18:19]
	s_wait_dscnt 0x0
	v_mul_f64_e32 v[18:19], v[24:25], v[74:75]
	s_delay_alu instid0(VALU_DEP_1) | instskip(SKIP_1) | instid1(VALU_DEP_2)
	v_fma_f64 v[88:89], v[22:23], v[72:73], -v[18:19]
	v_mul_f64_e32 v[18:19], v[22:23], v[74:75]
	v_add_f64_e64 v[88:89], v[13:14], -v[88:89]
	s_delay_alu instid0(VALU_DEP_2)
	v_fma_f64 v[90:91], v[24:25], v[72:73], v[18:19]
	ds_load_b128 v[18:21], v71
	ds_load_b128 v[22:25], v71 offset:1792
	ds_load_b128 v[34:37], v71 offset:3584
	;; [unrolled: 1-line block ×7, first 2 shown]
	global_wb scope:SCOPE_SE
	s_wait_dscnt 0x0
	s_barrier_signal -1
	s_barrier_wait -1
	global_inv scope:SCOPE_SE
	v_add_f64_e64 v[26:27], v[18:19], -v[4:5]
	v_add_f64_e64 v[28:29], v[20:21], -v[28:29]
	v_add_f64_e64 v[30:31], v[22:23], -v[30:31]
	v_add_f64_e64 v[32:33], v[24:25], -v[32:33]
	v_add_f64_e64 v[42:43], v[34:35], -v[42:43]
	v_add_f64_e64 v[44:45], v[36:37], -v[44:45]
	v_add_f64_e64 v[46:47], v[38:39], -v[46:47]
	v_add_f64_e64 v[48:49], v[40:41], -v[48:49]
	v_add_f64_e64 v[58:59], v[50:51], -v[58:59]
	v_add_f64_e64 v[60:61], v[52:53], -v[60:61]
	v_and_or_b32 v4, 0xfc, v3, v17
	v_add_f64_e64 v[62:63], v[54:55], -v[62:63]
	v_add_f64_e64 v[64:65], v[56:57], -v[64:65]
	;; [unrolled: 1-line block ×4, first 2 shown]
	v_lshl_add_u32 v4, v4, 4, v0
	v_add_f64_e64 v[84:85], v[76:77], -v[84:85]
	v_add_f64_e64 v[86:87], v[78:79], -v[86:87]
	;; [unrolled: 1-line block ×3, first 2 shown]
	v_fma_f64 v[92:93], v[13:14], 2.0, -v[88:89]
	scratch_store_b32 off, v4, off offset:364 ; 4-byte Folded Spill
	v_fma_f64 v[18:19], v[18:19], 2.0, -v[26:27]
	v_fma_f64 v[20:21], v[20:21], 2.0, -v[28:29]
	;; [unrolled: 1-line block ×6, first 2 shown]
	ds_store_b128 v4, v[26:29] offset:32
	v_fma_f64 v[38:39], v[38:39], 2.0, -v[46:47]
	v_fma_f64 v[40:41], v[40:41], 2.0, -v[48:49]
	v_fma_f64 v[50:51], v[50:51], 2.0, -v[58:59]
	v_fma_f64 v[52:53], v[52:53], 2.0, -v[60:61]
	v_fma_f64 v[54:55], v[54:55], 2.0, -v[62:63]
	v_fma_f64 v[56:57], v[56:57], 2.0, -v[64:65]
	v_fma_f64 v[66:67], v[66:67], 2.0, -v[80:81]
	v_fma_f64 v[68:69], v[68:69], 2.0, -v[82:83]
	v_fma_f64 v[76:77], v[76:77], 2.0, -v[84:85]
	v_fma_f64 v[78:79], v[78:79], 2.0, -v[86:87]
	v_fma_f64 v[94:95], v[15:16], 2.0, -v[90:91]
	ds_store_b128 v4, v[18:21]
	v_lshlrev_b32_e32 v4, 1, v12
	s_delay_alu instid0(VALU_DEP_1) | instskip(NEXT) | instid1(VALU_DEP_1)
	v_and_or_b32 v5, 0x1fc, v4, v17
	v_lshl_add_u32 v5, v5, 4, v0
	ds_store_b128 v5, v[22:25]
	ds_store_b128 v5, v[30:33] offset:32
	scratch_store_b32 off, v5, off offset:372 ; 4-byte Folded Spill
	v_lshlrev_b32_e32 v5, 1, v8
	s_delay_alu instid0(VALU_DEP_1) | instskip(NEXT) | instid1(VALU_DEP_1)
	v_and_or_b32 v13, 0x3fc, v5, v17
	v_lshl_add_u32 v13, v13, 4, v0
	ds_store_b128 v13, v[34:37]
	ds_store_b128 v13, v[42:45] offset:32
	scratch_store_b32 off, v13, off offset:368 ; 4-byte Folded Spill
	;; [unrolled: 7-line block ×5, first 2 shown]
	v_and_or_b32 v16, 0x7fc, v1, v17
	s_delay_alu instid0(VALU_DEP_1) | instskip(SKIP_4) | instid1(VALU_DEP_1)
	v_lshl_add_u32 v16, v16, 4, v0
	ds_store_b128 v16, v[66:69]
	ds_store_b128 v16, v[80:83] offset:32
	scratch_store_b32 off, v16, off offset:348 ; 4-byte Folded Spill
	v_and_or_b32 v16, 0x7fc, v2, v17
	v_lshl_add_u32 v16, v16, 4, v0
	ds_store_b128 v16, v[76:79]
	ds_store_b128 v16, v[84:87] offset:32
	scratch_store_b32 off, v16, off offset:344 ; 4-byte Folded Spill
	v_lshlrev_b32_e32 v16, 1, v96
	s_delay_alu instid0(VALU_DEP_1) | instskip(NEXT) | instid1(VALU_DEP_1)
	v_and_or_b32 v17, 0x7fc, v16, v17
	v_lshl_add_u32 v17, v17, 4, v0
	s_clause 0x1
	scratch_store_b32 off, v96, off offset:12
	scratch_store_b32 off, v17, off offset:340
	ds_store_b128 v17, v[92:95]
	ds_store_b128 v17, v[88:91] offset:32
	v_and_b32_e32 v17, 3, v70
	global_wb scope:SCOPE_SE
	s_wait_storecnt_dscnt 0x0
	s_barrier_signal -1
	s_barrier_wait -1
	global_inv scope:SCOPE_SE
	v_lshlrev_b32_e32 v18, 4, v17
	v_and_or_b32 v100, 0xf8, v3, v17
	global_load_b128 v[76:79], v18, s[10:11] offset:32
	ds_load_b128 v[80:83], v71 offset:16128
	ds_load_b128 v[18:21], v71 offset:14336
	v_lshl_add_u32 v100, v100, 4, v0
	s_wait_loadcnt_dscnt 0x1
	v_mul_f64_e32 v[22:23], v[82:83], v[78:79]
	s_delay_alu instid0(VALU_DEP_1) | instskip(SKIP_1) | instid1(VALU_DEP_1)
	v_fma_f64 v[30:31], v[80:81], v[76:77], -v[22:23]
	v_mul_f64_e32 v[22:23], v[80:81], v[78:79]
	v_fma_f64 v[32:33], v[82:83], v[76:77], v[22:23]
	ds_load_b128 v[22:25], v71 offset:17920
	ds_load_b128 v[26:29], v71 offset:19712
	s_wait_dscnt 0x1
	v_mul_f64_e32 v[34:35], v[24:25], v[78:79]
	s_delay_alu instid0(VALU_DEP_1) | instskip(SKIP_1) | instid1(VALU_DEP_1)
	v_fma_f64 v[34:35], v[22:23], v[76:77], -v[34:35]
	v_mul_f64_e32 v[22:23], v[22:23], v[78:79]
	v_fma_f64 v[36:37], v[24:25], v[76:77], v[22:23]
	s_wait_dscnt 0x0
	v_mul_f64_e32 v[22:23], v[28:29], v[78:79]
	s_delay_alu instid0(VALU_DEP_1) | instskip(SKIP_1) | instid1(VALU_DEP_1)
	v_fma_f64 v[46:47], v[26:27], v[76:77], -v[22:23]
	v_mul_f64_e32 v[22:23], v[26:27], v[78:79]
	v_fma_f64 v[48:49], v[28:29], v[76:77], v[22:23]
	ds_load_b128 v[22:25], v71 offset:21504
	ds_load_b128 v[26:29], v71 offset:23296
	s_wait_dscnt 0x1
	v_mul_f64_e32 v[38:39], v[24:25], v[78:79]
	s_delay_alu instid0(VALU_DEP_1) | instskip(SKIP_1) | instid1(VALU_DEP_1)
	v_fma_f64 v[50:51], v[22:23], v[76:77], -v[38:39]
	v_mul_f64_e32 v[22:23], v[22:23], v[78:79]
	v_fma_f64 v[52:53], v[24:25], v[76:77], v[22:23]
	s_wait_dscnt 0x0
	;; [unrolled: 14-line block ×4, first 2 shown]
	v_mul_f64_e32 v[22:23], v[28:29], v[78:79]
	s_delay_alu instid0(VALU_DEP_1) | instskip(SKIP_1) | instid1(VALU_DEP_2)
	v_fma_f64 v[96:97], v[26:27], v[76:77], -v[22:23]
	v_mul_f64_e32 v[22:23], v[26:27], v[78:79]
	v_add_f64_e64 v[96:97], v[18:19], -v[96:97]
	s_delay_alu instid0(VALU_DEP_2)
	v_fma_f64 v[98:99], v[28:29], v[76:77], v[22:23]
	ds_load_b128 v[22:25], v71
	ds_load_b128 v[26:29], v71 offset:1792
	ds_load_b128 v[38:41], v71 offset:3584
	;; [unrolled: 1-line block ×7, first 2 shown]
	global_wb scope:SCOPE_SE
	s_wait_dscnt 0x0
	s_barrier_signal -1
	s_barrier_wait -1
	global_inv scope:SCOPE_SE
	v_add_f64_e64 v[30:31], v[22:23], -v[30:31]
	v_add_f64_e64 v[32:33], v[24:25], -v[32:33]
	;; [unrolled: 1-line block ×16, first 2 shown]
	v_fma_f64 v[18:19], v[18:19], 2.0, -v[96:97]
	v_add_f64_e64 v[98:99], v[20:21], -v[98:99]
	v_fma_f64 v[22:23], v[22:23], 2.0, -v[30:31]
	v_fma_f64 v[24:25], v[24:25], 2.0, -v[32:33]
	;; [unrolled: 1-line block ×8, first 2 shown]
	ds_store_b128 v100, v[30:33] offset:64
	v_fma_f64 v[54:55], v[54:55], 2.0, -v[62:63]
	v_fma_f64 v[56:57], v[56:57], 2.0, -v[64:65]
	;; [unrolled: 1-line block ×9, first 2 shown]
	ds_store_b128 v100, v[22:25]
	v_and_or_b32 v22, 0x1f8, v4, v17
	s_delay_alu instid0(VALU_DEP_1) | instskip(SKIP_4) | instid1(VALU_DEP_1)
	v_lshl_add_u32 v22, v22, 4, v0
	ds_store_b128 v22, v[26:29]
	ds_store_b128 v22, v[34:37] offset:64
	scratch_store_b32 off, v22, off offset:408 ; 4-byte Folded Spill
	v_and_or_b32 v22, 0x3f8, v5, v17
	v_lshl_add_u32 v22, v22, 4, v0
	ds_store_b128 v22, v[38:41]
	ds_store_b128 v22, v[46:49] offset:64
	scratch_store_b32 off, v22, off offset:404 ; 4-byte Folded Spill
	v_and_or_b32 v22, 0x3f8, v13, v17
	s_delay_alu instid0(VALU_DEP_1) | instskip(SKIP_4) | instid1(VALU_DEP_1)
	v_lshl_add_u32 v22, v22, 4, v0
	ds_store_b128 v22, v[42:45]
	ds_store_b128 v22, v[50:53] offset:64
	scratch_store_b32 off, v22, off offset:396 ; 4-byte Folded Spill
	v_and_or_b32 v22, 0x7f8, v14, v17
	v_lshl_add_u32 v22, v22, 4, v0
	ds_store_b128 v22, v[54:57]
	ds_store_b128 v22, v[62:65] offset:64
	scratch_store_b32 off, v22, off offset:392 ; 4-byte Folded Spill
	;; [unrolled: 11-line block ×3, first 2 shown]
	v_and_or_b32 v22, 0x7f8, v2, v17
	v_and_or_b32 v17, 0x7f8, v16, v17
	s_delay_alu instid0(VALU_DEP_2) | instskip(NEXT) | instid1(VALU_DEP_2)
	v_lshl_add_u32 v22, v22, 4, v0
	v_lshl_add_u32 v17, v17, 4, v0
	s_clause 0x2
	scratch_store_b32 off, v100, off offset:400
	scratch_store_b32 off, v22, off offset:380
	;; [unrolled: 1-line block ×3, first 2 shown]
	ds_store_b128 v22, v[84:87]
	ds_store_b128 v22, v[92:95] offset:64
	ds_store_b128 v17, v[18:21]
	ds_store_b128 v17, v[96:99] offset:64
	v_and_b32_e32 v17, 7, v70
	global_wb scope:SCOPE_SE
	s_wait_storecnt_dscnt 0x0
	s_barrier_signal -1
	s_barrier_wait -1
	global_inv scope:SCOPE_SE
	v_lshlrev_b32_e32 v18, 4, v17
	v_and_or_b32 v104, 0xf0, v3, v17
	global_load_b128 v[80:83], v18, s[10:11] offset:96
	ds_load_b128 v[84:87], v71 offset:16128
	ds_load_b128 v[18:21], v71 offset:14336
	v_lshl_add_u32 v104, v104, 4, v0
	s_wait_loadcnt_dscnt 0x1
	v_mul_f64_e32 v[22:23], v[86:87], v[82:83]
	s_delay_alu instid0(VALU_DEP_1) | instskip(SKIP_1) | instid1(VALU_DEP_1)
	v_fma_f64 v[30:31], v[84:85], v[80:81], -v[22:23]
	v_mul_f64_e32 v[22:23], v[84:85], v[82:83]
	v_fma_f64 v[32:33], v[86:87], v[80:81], v[22:23]
	ds_load_b128 v[22:25], v71 offset:17920
	ds_load_b128 v[26:29], v71 offset:19712
	s_wait_dscnt 0x1
	v_mul_f64_e32 v[34:35], v[24:25], v[82:83]
	s_delay_alu instid0(VALU_DEP_1) | instskip(SKIP_1) | instid1(VALU_DEP_1)
	v_fma_f64 v[34:35], v[22:23], v[80:81], -v[34:35]
	v_mul_f64_e32 v[22:23], v[22:23], v[82:83]
	v_fma_f64 v[36:37], v[24:25], v[80:81], v[22:23]
	s_wait_dscnt 0x0
	v_mul_f64_e32 v[22:23], v[28:29], v[82:83]
	s_delay_alu instid0(VALU_DEP_1) | instskip(SKIP_1) | instid1(VALU_DEP_1)
	v_fma_f64 v[46:47], v[26:27], v[80:81], -v[22:23]
	v_mul_f64_e32 v[22:23], v[26:27], v[82:83]
	v_fma_f64 v[48:49], v[28:29], v[80:81], v[22:23]
	ds_load_b128 v[22:25], v71 offset:21504
	ds_load_b128 v[26:29], v71 offset:23296
	s_wait_dscnt 0x1
	v_mul_f64_e32 v[38:39], v[24:25], v[82:83]
	s_delay_alu instid0(VALU_DEP_1) | instskip(SKIP_1) | instid1(VALU_DEP_1)
	v_fma_f64 v[50:51], v[22:23], v[80:81], -v[38:39]
	v_mul_f64_e32 v[22:23], v[22:23], v[82:83]
	v_fma_f64 v[52:53], v[24:25], v[80:81], v[22:23]
	s_wait_dscnt 0x0
	;; [unrolled: 14-line block ×4, first 2 shown]
	v_mul_f64_e32 v[22:23], v[28:29], v[82:83]
	s_delay_alu instid0(VALU_DEP_1) | instskip(SKIP_1) | instid1(VALU_DEP_2)
	v_fma_f64 v[100:101], v[26:27], v[80:81], -v[22:23]
	v_mul_f64_e32 v[22:23], v[26:27], v[82:83]
	v_add_f64_e64 v[100:101], v[18:19], -v[100:101]
	s_delay_alu instid0(VALU_DEP_2)
	v_fma_f64 v[102:103], v[28:29], v[80:81], v[22:23]
	ds_load_b128 v[22:25], v71
	ds_load_b128 v[26:29], v71 offset:1792
	ds_load_b128 v[38:41], v71 offset:3584
	;; [unrolled: 1-line block ×7, first 2 shown]
	global_wb scope:SCOPE_SE
	s_wait_dscnt 0x0
	s_barrier_signal -1
	s_barrier_wait -1
	global_inv scope:SCOPE_SE
	v_add_f64_e64 v[30:31], v[22:23], -v[30:31]
	v_add_f64_e64 v[32:33], v[24:25], -v[32:33]
	;; [unrolled: 1-line block ×16, first 2 shown]
	v_fma_f64 v[18:19], v[18:19], 2.0, -v[100:101]
	v_add_f64_e64 v[102:103], v[20:21], -v[102:103]
	v_fma_f64 v[22:23], v[22:23], 2.0, -v[30:31]
	v_fma_f64 v[24:25], v[24:25], 2.0, -v[32:33]
	;; [unrolled: 1-line block ×8, first 2 shown]
	ds_store_b128 v104, v[30:33] offset:128
	v_fma_f64 v[54:55], v[54:55], 2.0, -v[62:63]
	v_fma_f64 v[56:57], v[56:57], 2.0, -v[64:65]
	;; [unrolled: 1-line block ×9, first 2 shown]
	ds_store_b128 v104, v[22:25]
	v_and_or_b32 v22, 0x1f0, v4, v17
	s_delay_alu instid0(VALU_DEP_1) | instskip(SKIP_4) | instid1(VALU_DEP_1)
	v_lshl_add_u32 v22, v22, 4, v0
	ds_store_b128 v22, v[26:29]
	ds_store_b128 v22, v[34:37] offset:128
	scratch_store_b32 off, v22, off offset:500 ; 4-byte Folded Spill
	v_and_or_b32 v22, 0x3f0, v5, v17
	v_lshl_add_u32 v22, v22, 4, v0
	ds_store_b128 v22, v[38:41]
	ds_store_b128 v22, v[46:49] offset:128
	scratch_store_b32 off, v22, off offset:496 ; 4-byte Folded Spill
	v_and_or_b32 v22, 0x3f0, v13, v17
	s_delay_alu instid0(VALU_DEP_1) | instskip(SKIP_4) | instid1(VALU_DEP_1)
	v_lshl_add_u32 v22, v22, 4, v0
	ds_store_b128 v22, v[42:45]
	ds_store_b128 v22, v[50:53] offset:128
	scratch_store_b32 off, v22, off offset:488 ; 4-byte Folded Spill
	v_and_or_b32 v22, 0x7f0, v14, v17
	v_lshl_add_u32 v22, v22, 4, v0
	ds_store_b128 v22, v[54:57]
	ds_store_b128 v22, v[62:65] offset:128
	scratch_store_b32 off, v22, off offset:484 ; 4-byte Folded Spill
	;; [unrolled: 11-line block ×3, first 2 shown]
	v_and_or_b32 v22, 0x7f0, v2, v17
	v_and_or_b32 v17, 0x7f0, v16, v17
	s_delay_alu instid0(VALU_DEP_2) | instskip(NEXT) | instid1(VALU_DEP_2)
	v_lshl_add_u32 v22, v22, 4, v0
	v_lshl_add_u32 v17, v17, 4, v0
	s_clause 0x2
	scratch_store_b32 off, v104, off offset:492
	scratch_store_b32 off, v22, off offset:472
	;; [unrolled: 1-line block ×3, first 2 shown]
	ds_store_b128 v22, v[88:91]
	ds_store_b128 v22, v[96:99] offset:128
	ds_store_b128 v17, v[18:21]
	ds_store_b128 v17, v[100:103] offset:128
	v_and_b32_e32 v17, 15, v70
	global_wb scope:SCOPE_SE
	s_wait_storecnt_dscnt 0x0
	s_barrier_signal -1
	s_barrier_wait -1
	global_inv scope:SCOPE_SE
	v_lshlrev_b32_e32 v18, 4, v17
	v_and_or_b32 v3, 0xe0, v3, v17
	v_and_or_b32 v1, 0x7e0, v1, v17
	global_load_b128 v[84:87], v18, s[10:11] offset:224
	ds_load_b128 v[88:91], v71 offset:16128
	ds_load_b128 v[18:21], v71 offset:14336
	v_lshl_add_u32 v3, v3, 4, v0
	v_lshl_add_u32 v1, v1, 4, v0
	s_wait_loadcnt_dscnt 0x1
	v_mul_f64_e32 v[22:23], v[90:91], v[86:87]
	s_delay_alu instid0(VALU_DEP_1) | instskip(SKIP_1) | instid1(VALU_DEP_1)
	v_fma_f64 v[30:31], v[88:89], v[84:85], -v[22:23]
	v_mul_f64_e32 v[22:23], v[88:89], v[86:87]
	v_fma_f64 v[32:33], v[90:91], v[84:85], v[22:23]
	ds_load_b128 v[22:25], v71 offset:17920
	ds_load_b128 v[26:29], v71 offset:19712
	s_wait_dscnt 0x1
	v_mul_f64_e32 v[34:35], v[24:25], v[86:87]
	s_delay_alu instid0(VALU_DEP_1) | instskip(SKIP_1) | instid1(VALU_DEP_1)
	v_fma_f64 v[34:35], v[22:23], v[84:85], -v[34:35]
	v_mul_f64_e32 v[22:23], v[22:23], v[86:87]
	v_fma_f64 v[36:37], v[24:25], v[84:85], v[22:23]
	s_wait_dscnt 0x0
	v_mul_f64_e32 v[22:23], v[28:29], v[86:87]
	s_delay_alu instid0(VALU_DEP_1) | instskip(SKIP_1) | instid1(VALU_DEP_1)
	v_fma_f64 v[46:47], v[26:27], v[84:85], -v[22:23]
	v_mul_f64_e32 v[22:23], v[26:27], v[86:87]
	v_fma_f64 v[48:49], v[28:29], v[84:85], v[22:23]
	ds_load_b128 v[22:25], v71 offset:21504
	ds_load_b128 v[26:29], v71 offset:23296
	s_wait_dscnt 0x1
	v_mul_f64_e32 v[38:39], v[24:25], v[86:87]
	s_delay_alu instid0(VALU_DEP_1) | instskip(SKIP_1) | instid1(VALU_DEP_1)
	v_fma_f64 v[50:51], v[22:23], v[84:85], -v[38:39]
	v_mul_f64_e32 v[22:23], v[22:23], v[86:87]
	v_fma_f64 v[52:53], v[24:25], v[84:85], v[22:23]
	s_wait_dscnt 0x0
	v_mul_f64_e32 v[22:23], v[28:29], v[86:87]
	s_delay_alu instid0(VALU_DEP_1) | instskip(SKIP_1) | instid1(VALU_DEP_1)
	v_fma_f64 v[62:63], v[26:27], v[84:85], -v[22:23]
	v_mul_f64_e32 v[22:23], v[26:27], v[86:87]
	v_fma_f64 v[64:65], v[28:29], v[84:85], v[22:23]
	ds_load_b128 v[22:25], v71 offset:25088
	ds_load_b128 v[26:29], v71 offset:26880
	s_wait_dscnt 0x1
	v_mul_f64_e32 v[38:39], v[24:25], v[86:87]
	s_delay_alu instid0(VALU_DEP_1) | instskip(SKIP_1) | instid1(VALU_DEP_1)
	v_fma_f64 v[66:67], v[22:23], v[84:85], -v[38:39]
	v_mul_f64_e32 v[22:23], v[22:23], v[86:87]
	v_fma_f64 v[68:69], v[24:25], v[84:85], v[22:23]
	s_wait_dscnt 0x0
	v_mul_f64_e32 v[22:23], v[28:29], v[86:87]
	s_delay_alu instid0(VALU_DEP_1) | instskip(SKIP_1) | instid1(VALU_DEP_1)
	v_fma_f64 v[96:97], v[26:27], v[84:85], -v[22:23]
	v_mul_f64_e32 v[22:23], v[26:27], v[86:87]
	v_fma_f64 v[98:99], v[28:29], v[84:85], v[22:23]
	ds_load_b128 v[22:25], v71 offset:28672
	ds_load_b128 v[26:29], v71 offset:30464
	s_wait_dscnt 0x1
	v_mul_f64_e32 v[38:39], v[24:25], v[86:87]
	s_delay_alu instid0(VALU_DEP_1) | instskip(SKIP_1) | instid1(VALU_DEP_1)
	v_fma_f64 v[100:101], v[22:23], v[84:85], -v[38:39]
	v_mul_f64_e32 v[22:23], v[22:23], v[86:87]
	v_fma_f64 v[102:103], v[24:25], v[84:85], v[22:23]
	s_wait_dscnt 0x0
	v_mul_f64_e32 v[22:23], v[28:29], v[86:87]
	s_delay_alu instid0(VALU_DEP_1) | instskip(SKIP_1) | instid1(VALU_DEP_2)
	v_fma_f64 v[104:105], v[26:27], v[84:85], -v[22:23]
	v_mul_f64_e32 v[22:23], v[26:27], v[86:87]
	v_add_f64_e64 v[104:105], v[18:19], -v[104:105]
	s_delay_alu instid0(VALU_DEP_2)
	v_fma_f64 v[106:107], v[28:29], v[84:85], v[22:23]
	ds_load_b128 v[22:25], v71
	ds_load_b128 v[26:29], v71 offset:1792
	ds_load_b128 v[38:41], v71 offset:3584
	;; [unrolled: 1-line block ×7, first 2 shown]
	global_wb scope:SCOPE_SE
	s_wait_dscnt 0x0
	s_barrier_signal -1
	s_barrier_wait -1
	global_inv scope:SCOPE_SE
	s_clause 0x1
	scratch_store_b32 off, v3, off offset:572
	scratch_store_b32 off, v1, off offset:556
	v_add_f64_e64 v[30:31], v[22:23], -v[30:31]
	v_add_f64_e64 v[32:33], v[24:25], -v[32:33]
	;; [unrolled: 1-line block ×16, first 2 shown]
	v_fma_f64 v[18:19], v[18:19], 2.0, -v[104:105]
	v_add_f64_e64 v[106:107], v[20:21], -v[106:107]
	v_fma_f64 v[22:23], v[22:23], 2.0, -v[30:31]
	v_fma_f64 v[24:25], v[24:25], 2.0, -v[32:33]
	;; [unrolled: 1-line block ×8, first 2 shown]
	ds_store_b128 v3, v[30:33] offset:256
	v_fma_f64 v[54:55], v[54:55], 2.0, -v[62:63]
	v_fma_f64 v[56:57], v[56:57], 2.0, -v[64:65]
	;; [unrolled: 1-line block ×9, first 2 shown]
	ds_store_b128 v3, v[22:25]
	v_and_or_b32 v3, 0x1e0, v4, v17
	v_and_b32_e32 v4, 31, v70
	s_delay_alu instid0(VALU_DEP_2)
	v_lshl_add_u32 v3, v3, 4, v0
	ds_store_b128 v3, v[26:29]
	ds_store_b128 v3, v[34:37] offset:256
	scratch_store_b32 off, v3, off offset:580 ; 4-byte Folded Spill
	v_and_or_b32 v3, 0x3e0, v5, v17
	v_and_b32_e32 v5, 31, v9
	s_delay_alu instid0(VALU_DEP_2) | instskip(NEXT) | instid1(VALU_DEP_2)
	v_lshl_add_u32 v3, v3, 4, v0
	v_lshlrev_b32_e32 v25, 5, v5
	ds_store_b128 v3, v[38:41]
	ds_store_b128 v3, v[46:49] offset:256
	scratch_store_b32 off, v3, off offset:576 ; 4-byte Folded Spill
	v_and_or_b32 v3, 0x3e0, v13, v17
	s_delay_alu instid0(VALU_DEP_1) | instskip(SKIP_4) | instid1(VALU_DEP_1)
	v_lshl_add_u32 v3, v3, 4, v0
	ds_store_b128 v3, v[42:45]
	ds_store_b128 v3, v[50:53] offset:256
	scratch_store_b32 off, v3, off offset:568 ; 4-byte Folded Spill
	v_and_or_b32 v3, 0x7e0, v14, v17
	v_lshl_add_u32 v3, v3, 4, v0
	ds_store_b128 v3, v[54:57]
	ds_store_b128 v3, v[62:65] offset:256
	scratch_store_b32 off, v3, off offset:564 ; 4-byte Folded Spill
	v_and_or_b32 v3, 0x5e0, v15, v17
	s_delay_alu instid0(VALU_DEP_1)
	v_lshl_add_u32 v3, v3, 4, v0
	ds_store_b128 v3, v[58:61]
	ds_store_b128 v3, v[66:69] offset:256
	ds_store_b128 v1, v[88:91]
	ds_store_b128 v1, v[96:99] offset:256
	v_and_or_b32 v1, 0x7e0, v2, v17
	s_delay_alu instid0(VALU_DEP_1) | instskip(SKIP_4) | instid1(VALU_DEP_1)
	v_lshl_add_u32 v1, v1, 4, v0
	ds_store_b128 v1, v[92:95]
	ds_store_b128 v1, v[100:103] offset:256
	scratch_store_b32 off, v1, off offset:536 ; 4-byte Folded Spill
	v_and_or_b32 v1, 0x7e0, v16, v17
	v_lshl_add_u32 v1, v1, 4, v0
	s_clause 0x1
	scratch_store_b32 off, v3, off offset:560
	scratch_store_b32 off, v1, off offset:532
	ds_store_b128 v1, v[18:21]
	ds_store_b128 v1, v[104:107] offset:256
	v_lshlrev_b32_e32 v1, 5, v4
	global_wb scope:SCOPE_SE
	s_wait_storecnt_dscnt 0x0
	s_barrier_signal -1
	s_barrier_wait -1
	global_inv scope:SCOPE_SE
	s_clause 0x1
	global_load_b128 v[88:91], v1, s[10:11] offset:480
	global_load_b128 v[92:95], v1, s[10:11] offset:496
	ds_load_b128 v[13:16], v71 offset:10752
	ds_load_b128 v[17:20], v71 offset:12544
	s_wait_loadcnt_dscnt 0x101
	v_mul_f64_e32 v[1:2], v[15:16], v[90:91]
	s_delay_alu instid0(VALU_DEP_1) | instskip(SKIP_1) | instid1(VALU_DEP_1)
	v_fma_f64 v[26:27], v[13:14], v[88:89], -v[1:2]
	v_mul_f64_e32 v[1:2], v[13:14], v[90:91]
	v_fma_f64 v[28:29], v[15:16], v[88:89], v[1:2]
	ds_load_b128 v[13:16], v71 offset:21504
	ds_load_b128 v[21:24], v71 offset:23296
	s_wait_loadcnt_dscnt 0x1
	v_mul_f64_e32 v[1:2], v[15:16], v[94:95]
	s_delay_alu instid0(VALU_DEP_1) | instskip(SKIP_1) | instid1(VALU_DEP_1)
	v_fma_f64 v[30:31], v[13:14], v[92:93], -v[1:2]
	v_mul_f64_e32 v[1:2], v[13:14], v[94:95]
	v_fma_f64 v[32:33], v[15:16], v[92:93], v[1:2]
	v_and_b32_e32 v1, 31, v12
	s_delay_alu instid0(VALU_DEP_1)
	v_lshlrev_b32_e32 v2, 5, v1
	s_clause 0x1
	global_load_b64 v[13:14], v2, s[10:11] offset:480
	global_load_b128 v[96:99], v25, s[10:11] offset:480
	s_wait_loadcnt 0x1
	scratch_store_b64 off, v[13:14], off offset:412 ; 8-byte Folded Spill
	s_clause 0x1
	global_load_b128 v[104:107], v25, s[10:11] offset:496
	global_load_b128 v[100:103], v25, s[10:11] offset:488
	s_wait_loadcnt 0x2
	v_mul_f64_e32 v[2:3], v[19:20], v[98:99]
	s_delay_alu instid0(VALU_DEP_1) | instskip(SKIP_1) | instid1(VALU_DEP_1)
	v_fma_f64 v[34:35], v[17:18], v[13:14], -v[2:3]
	v_mul_f64_e32 v[2:3], v[17:18], v[98:99]
	v_fma_f64 v[36:37], v[19:20], v[13:14], v[2:3]
	ds_load_b128 v[13:16], v71 offset:14336
	ds_load_b128 v[17:20], v71 offset:16128
	s_wait_loadcnt_dscnt 0x102
	v_mul_f64_e32 v[2:3], v[23:24], v[106:107]
	s_wait_loadcnt 0x0
	s_delay_alu instid0(VALU_DEP_1) | instskip(SKIP_1) | instid1(VALU_DEP_1)
	v_fma_f64 v[38:39], v[21:22], v[102:103], -v[2:3]
	v_mul_f64_e32 v[2:3], v[21:22], v[106:107]
	v_fma_f64 v[40:41], v[23:24], v[102:103], v[2:3]
	s_wait_dscnt 0x1
	v_mul_f64_e32 v[2:3], v[15:16], v[90:91]
	s_delay_alu instid0(VALU_DEP_1) | instskip(SKIP_1) | instid1(VALU_DEP_1)
	v_fma_f64 v[42:43], v[13:14], v[88:89], -v[2:3]
	v_mul_f64_e32 v[2:3], v[13:14], v[90:91]
	v_fma_f64 v[44:45], v[15:16], v[88:89], v[2:3]
	ds_load_b128 v[13:16], v71 offset:25088
	ds_load_b128 v[21:24], v71 offset:26880
	s_wait_dscnt 0x1
	v_mul_f64_e32 v[2:3], v[15:16], v[94:95]
	s_delay_alu instid0(VALU_DEP_1) | instskip(SKIP_2) | instid1(VALU_DEP_2)
	v_fma_f64 v[46:47], v[13:14], v[92:93], -v[2:3]
	v_mul_f64_e32 v[2:3], v[13:14], v[94:95]
	v_and_b32_e32 v13, 31, v11
	v_fma_f64 v[48:49], v[15:16], v[92:93], v[2:3]
	s_delay_alu instid0(VALU_DEP_2)
	v_lshlrev_b32_e32 v2, 5, v13
	s_clause 0x1
	global_load_b64 v[108:109], v25, s[10:11] offset:504
	global_load_b128 v[124:127], v2, s[10:11] offset:480
	s_wait_loadcnt 0x0
	v_mul_f64_e32 v[14:15], v[19:20], v[126:127]
	s_delay_alu instid0(VALU_DEP_1) | instskip(SKIP_1) | instid1(VALU_DEP_1)
	v_fma_f64 v[50:51], v[17:18], v[124:125], -v[14:15]
	v_mul_f64_e32 v[14:15], v[17:18], v[126:127]
	v_fma_f64 v[52:53], v[19:20], v[124:125], v[14:15]
	global_load_b128 v[16:19], v2, s[10:11] offset:496
	v_lshrrev_b32_e32 v2, 5, v70
	s_delay_alu instid0(VALU_DEP_1) | instskip(NEXT) | instid1(VALU_DEP_1)
	v_mul_u32_u24_e32 v2, 0x60, v2
	v_or_b32_e32 v2, v2, v4
	s_delay_alu instid0(VALU_DEP_1)
	v_lshl_add_u32 v2, v2, 4, v0
	s_wait_loadcnt_dscnt 0x0
	v_mul_f64_e32 v[14:15], v[23:24], v[18:19]
	scratch_store_b128 off, v[16:19], off offset:540 ; 16-byte Folded Spill
	v_fma_f64 v[54:55], v[21:22], v[16:17], -v[14:15]
	v_mul_f64_e32 v[14:15], v[21:22], v[18:19]
	s_delay_alu instid0(VALU_DEP_1) | instskip(SKIP_4) | instid1(VALU_DEP_1)
	v_fma_f64 v[56:57], v[23:24], v[16:17], v[14:15]
	ds_load_b128 v[14:17], v71 offset:17920
	ds_load_b128 v[18:21], v71 offset:19712
	s_wait_dscnt 0x1
	v_mul_f64_e32 v[22:23], v[16:17], v[90:91]
	v_fma_f64 v[58:59], v[14:15], v[88:89], -v[22:23]
	v_mul_f64_e32 v[14:15], v[14:15], v[90:91]
	s_delay_alu instid0(VALU_DEP_1)
	v_fma_f64 v[60:61], v[16:17], v[88:89], v[14:15]
	ds_load_b128 v[14:17], v71 offset:28672
	ds_load_b128 v[22:25], v71 offset:30464
	s_clause 0x3
	scratch_store_b128 off, v[100:103], off offset:436
	scratch_store_b128 off, v[96:99], off offset:420
	scratch_store_b64 off, v[108:109], off offset:508
	scratch_store_b128 off, v[104:107], off offset:452
	s_wait_dscnt 0x1
	v_mul_f64_e32 v[62:63], v[16:17], v[94:95]
	s_delay_alu instid0(VALU_DEP_1) | instskip(SKIP_1) | instid1(VALU_DEP_2)
	v_fma_f64 v[62:63], v[14:15], v[92:93], -v[62:63]
	v_mul_f64_e32 v[14:15], v[14:15], v[94:95]
	v_add_f64_e32 v[132:133], v[58:59], v[62:63]
	s_delay_alu instid0(VALU_DEP_2) | instskip(SKIP_1) | instid1(VALU_DEP_2)
	v_fma_f64 v[64:65], v[16:17], v[92:93], v[14:15]
	v_mul_f64_e32 v[14:15], v[20:21], v[100:101]
	v_add_f64_e32 v[134:135], v[60:61], v[64:65]
	s_delay_alu instid0(VALU_DEP_2) | instskip(SKIP_1) | instid1(VALU_DEP_1)
	v_fma_f64 v[66:67], v[18:19], v[96:97], -v[14:15]
	v_mul_f64_e32 v[14:15], v[18:19], v[100:101]
	v_fma_f64 v[68:69], v[20:21], v[96:97], v[14:15]
	s_wait_dscnt 0x0
	v_mul_f64_e32 v[14:15], v[24:25], v[108:109]
	s_delay_alu instid0(VALU_DEP_1) | instskip(SKIP_2) | instid1(VALU_DEP_2)
	v_fma_f64 v[128:129], v[22:23], v[104:105], -v[14:15]
	v_mul_f64_e32 v[14:15], v[22:23], v[108:109]
	v_add_f64_e32 v[22:23], v[26:27], v[30:31]
	v_fma_f64 v[130:131], v[24:25], v[104:105], v[14:15]
	ds_load_b128 v[14:17], v71
	ds_load_b128 v[18:21], v71 offset:1792
	s_wait_dscnt 0x1
	v_fma_f64 v[24:25], v[22:23], -0.5, v[14:15]
	v_add_f64_e32 v[22:23], v[28:29], v[32:33]
	v_add_f64_e32 v[14:15], v[14:15], v[26:27]
	s_delay_alu instid0(VALU_DEP_2) | instskip(SKIP_2) | instid1(VALU_DEP_4)
	v_fma_f64 v[108:109], v[22:23], -0.5, v[16:17]
	v_add_f64_e32 v[16:17], v[16:17], v[28:29]
	v_add_f64_e64 v[28:29], v[28:29], -v[32:33]
	v_add_f64_e32 v[14:15], v[14:15], v[30:31]
	v_add_f64_e64 v[30:31], v[26:27], -v[30:31]
	s_delay_alu instid0(VALU_DEP_4) | instskip(NEXT) | instid1(VALU_DEP_4)
	v_add_f64_e32 v[16:17], v[16:17], v[32:33]
	v_fma_f64 v[22:23], v[28:29], s[2:3], v[24:25]
	v_fma_f64 v[26:27], v[28:29], s[12:13], v[24:25]
	s_delay_alu instid0(VALU_DEP_4) | instskip(SKIP_4) | instid1(VALU_DEP_2)
	v_fma_f64 v[24:25], v[30:31], s[12:13], v[108:109]
	v_fma_f64 v[28:29], v[30:31], s[2:3], v[108:109]
	v_add_f64_e32 v[30:31], v[34:35], v[38:39]
	v_add_f64_e32 v[32:33], v[36:37], v[40:41]
	s_wait_dscnt 0x0
	v_fma_f64 v[30:31], v[30:31], -0.5, v[18:19]
	v_add_f64_e32 v[18:19], v[18:19], v[34:35]
	s_delay_alu instid0(VALU_DEP_3) | instskip(SKIP_2) | instid1(VALU_DEP_4)
	v_fma_f64 v[32:33], v[32:33], -0.5, v[20:21]
	v_add_f64_e32 v[20:21], v[20:21], v[36:37]
	v_add_f64_e64 v[36:37], v[36:37], -v[40:41]
	v_add_f64_e32 v[108:109], v[18:19], v[38:39]
	v_add_f64_e64 v[18:19], v[34:35], -v[38:39]
	v_add_f64_e32 v[34:35], v[42:43], v[46:47]
	v_add_f64_e32 v[110:111], v[20:21], v[40:41]
	v_fma_f64 v[120:121], v[36:37], s[2:3], v[30:31]
	v_fma_f64 v[116:117], v[36:37], s[12:13], v[30:31]
	v_add_f64_e64 v[38:39], v[44:45], -v[48:49]
	v_fma_f64 v[122:123], v[18:19], s[12:13], v[32:33]
	v_fma_f64 v[118:119], v[18:19], s[2:3], v[32:33]
	ds_load_b128 v[18:21], v71 offset:3584
	ds_load_b128 v[30:33], v71 offset:5376
	s_wait_dscnt 0x1
	v_fma_f64 v[36:37], v[34:35], -0.5, v[18:19]
	v_add_f64_e32 v[34:35], v[44:45], v[48:49]
	v_add_f64_e32 v[18:19], v[18:19], v[42:43]
	v_add_f64_e64 v[42:43], v[42:43], -v[46:47]
	s_delay_alu instid0(VALU_DEP_3)
	v_fma_f64 v[40:41], v[34:35], -0.5, v[20:21]
	v_fma_f64 v[34:35], v[38:39], s[2:3], v[36:37]
	v_fma_f64 v[38:39], v[38:39], s[12:13], v[36:37]
	v_add_f64_e32 v[20:21], v[20:21], v[44:45]
	v_add_f64_e32 v[18:19], v[18:19], v[46:47]
	v_add_f64_e64 v[46:47], v[52:53], -v[56:57]
	v_fma_f64 v[36:37], v[42:43], s[12:13], v[40:41]
	v_fma_f64 v[40:41], v[42:43], s[2:3], v[40:41]
	v_add_f64_e32 v[42:43], v[50:51], v[54:55]
	v_add_f64_e32 v[20:21], v[20:21], v[48:49]
	s_wait_dscnt 0x0
	s_delay_alu instid0(VALU_DEP_2) | instskip(SKIP_3) | instid1(VALU_DEP_3)
	v_fma_f64 v[44:45], v[42:43], -0.5, v[30:31]
	v_add_f64_e32 v[42:43], v[52:53], v[56:57]
	v_add_f64_e32 v[30:31], v[30:31], v[50:51]
	v_add_f64_e64 v[50:51], v[50:51], -v[54:55]
	v_fma_f64 v[48:49], v[42:43], -0.5, v[32:33]
	v_add_f64_e32 v[32:33], v[32:33], v[52:53]
	s_delay_alu instid0(VALU_DEP_4)
	v_add_f64_e32 v[30:31], v[30:31], v[54:55]
	v_fma_f64 v[42:43], v[46:47], s[2:3], v[44:45]
	v_fma_f64 v[46:47], v[46:47], s[12:13], v[44:45]
	;; [unrolled: 1-line block ×3, first 2 shown]
	v_add_f64_e32 v[32:33], v[32:33], v[56:57]
	v_fma_f64 v[48:49], v[50:51], s[2:3], v[48:49]
	ds_load_b128 v[50:53], v71 offset:7168
	ds_load_b128 v[54:57], v71 offset:8960
	global_wb scope:SCOPE_SE
	s_wait_storecnt_dscnt 0x0
	s_barrier_signal -1
	s_barrier_wait -1
	global_inv scope:SCOPE_SE
	ds_store_b128 v2, v[14:17]
	ds_store_b128 v2, v[22:25] offset:512
	scratch_store_b32 off, v2, off offset:504 ; 4-byte Folded Spill
	ds_store_b128 v2, v[26:29] offset:1024
	v_lshrrev_b32_e32 v2, 5, v12
	s_delay_alu instid0(VALU_DEP_1) | instskip(NEXT) | instid1(VALU_DEP_1)
	v_mul_u32_u24_e32 v2, 0x60, v2
	v_or_b32_e32 v1, v2, v1
	v_fma_f64 v[134:135], v[134:135], -0.5, v[52:53]
	v_add_f64_e32 v[52:53], v[52:53], v[60:61]
	v_fma_f64 v[132:133], v[132:133], -0.5, v[50:51]
	v_add_f64_e32 v[50:51], v[50:51], v[58:59]
	v_add_f64_e64 v[60:61], v[60:61], -v[64:65]
	v_lshl_add_u32 v1, v1, 4, v0
	ds_store_b128 v1, v[108:111]
	ds_store_b128 v1, v[120:123] offset:512
	scratch_store_b32 off, v1, off offset:624 ; 4-byte Folded Spill
	ds_store_b128 v1, v[116:119] offset:1024
	v_lshrrev_b32_e32 v1, 5, v8
	s_delay_alu instid0(VALU_DEP_1) | instskip(NEXT) | instid1(VALU_DEP_1)
	v_mul_u32_u24_e32 v1, 0x60, v1
	v_or_b32_e32 v1, v1, v4
	s_delay_alu instid0(VALU_DEP_1)
	v_lshl_add_u32 v1, v1, 4, v0
	ds_store_b128 v1, v[18:21]
	ds_store_b128 v1, v[34:37] offset:512
	scratch_store_b32 off, v1, off offset:620 ; 4-byte Folded Spill
	ds_store_b128 v1, v[38:41] offset:1024
	v_lshrrev_b32_e32 v1, 5, v11
	v_add_f64_e32 v[52:53], v[52:53], v[64:65]
	v_add_f64_e64 v[64:65], v[58:59], -v[62:63]
	v_add_f64_e32 v[50:51], v[50:51], v[62:63]
	v_fma_f64 v[58:59], v[60:61], s[2:3], v[132:133]
	v_fma_f64 v[62:63], v[60:61], s[12:13], v[132:133]
	v_add_f64_e32 v[132:133], v[66:67], v[128:129]
	v_mul_u32_u24_e32 v1, 0x60, v1
	s_delay_alu instid0(VALU_DEP_1) | instskip(NEXT) | instid1(VALU_DEP_1)
	v_or_b32_e32 v1, v1, v13
	v_lshl_add_u32 v1, v1, 4, v0
	ds_store_b128 v1, v[30:33]
	ds_store_b128 v1, v[42:45] offset:512
	scratch_store_b32 off, v1, off offset:616 ; 4-byte Folded Spill
	ds_store_b128 v1, v[46:49] offset:1024
	v_lshrrev_b32_e32 v1, 5, v10
	s_delay_alu instid0(VALU_DEP_1) | instskip(NEXT) | instid1(VALU_DEP_1)
	v_mul_u32_u24_e32 v1, 0x60, v1
	v_or_b32_e32 v1, v1, v4
	v_fma_f64 v[60:61], v[64:65], s[12:13], v[134:135]
	v_fma_f64 v[64:65], v[64:65], s[2:3], v[134:135]
	v_add_f64_e32 v[134:135], v[68:69], v[130:131]
	s_delay_alu instid0(VALU_DEP_4)
	v_lshl_add_u32 v1, v1, 4, v0
	v_fma_f64 v[132:133], v[132:133], -0.5, v[54:55]
	v_add_f64_e32 v[54:55], v[54:55], v[66:67]
	ds_store_b128 v1, v[50:53]
	ds_store_b128 v1, v[58:61] offset:512
	scratch_store_b32 off, v1, off offset:612 ; 4-byte Folded Spill
	ds_store_b128 v1, v[62:65] offset:1024
	v_fma_f64 v[134:135], v[134:135], -0.5, v[56:57]
	v_add_f64_e32 v[56:57], v[56:57], v[68:69]
	v_add_f64_e64 v[68:69], v[68:69], -v[130:131]
	v_add_f64_e32 v[54:55], v[54:55], v[128:129]
	v_lshrrev_b32_e32 v1, 5, v9
	s_delay_alu instid0(VALU_DEP_1) | instskip(NEXT) | instid1(VALU_DEP_1)
	v_mul_u32_u24_e32 v1, 0x60, v1
	v_or_b32_e32 v1, v1, v5
	s_delay_alu instid0(VALU_DEP_1) | instskip(SKIP_4) | instid1(VALU_DEP_3)
	v_lshl_add_u32 v1, v1, 4, v0
	v_add_f64_e32 v[56:57], v[56:57], v[130:131]
	v_add_f64_e64 v[130:131], v[66:67], -v[128:129]
	v_fma_f64 v[66:67], v[68:69], s[2:3], v[132:133]
	v_fma_f64 v[128:129], v[68:69], s[12:13], v[132:133]
	;; [unrolled: 1-line block ×4, first 2 shown]
	ds_store_b128 v1, v[54:57]
	ds_store_b128 v1, v[66:69] offset:512
	scratch_store_b32 off, v1, off offset:608 ; 4-byte Folded Spill
	ds_store_b128 v1, v[128:131] offset:1024
	v_add_co_u32 v1, s14, 0xffffffa0, v70
	s_wait_alu 0xf1ff
	v_add_co_ci_u32_e64 v2, null, 0, -1, s14
	global_wb scope:SCOPE_SE
	s_wait_storecnt_dscnt 0x0
	v_cndmask_b32_e32 v4, v1, v70, vcc_lo
	s_barrier_signal -1
	v_cndmask_b32_e64 v5, v2, 0, vcc_lo
	s_barrier_wait -1
	global_inv scope:SCOPE_SE
	v_and_b32_e32 v1, 0xff, v12
	v_lshlrev_b64_e32 v[13:14], 5, v[4:5]
	s_delay_alu instid0(VALU_DEP_2) | instskip(NEXT) | instid1(VALU_DEP_2)
	v_mul_lo_u16 v1, 0xab, v1
	v_add_co_u32 v13, vcc_lo, s10, v13
	s_wait_alu 0xfffd
	s_delay_alu instid0(VALU_DEP_3)
	v_add_co_ci_u32_e32 v14, vcc_lo, s11, v14, vcc_lo
	s_clause 0x1
	global_load_b128 v[27:30], v[13:14], off offset:1504
	global_load_b128 v[116:119], v[13:14], off offset:1520
	ds_load_b128 v[13:16], v71 offset:10752
	ds_load_b128 v[17:20], v71 offset:12544
	v_lshrrev_b16 v1, 14, v1
	v_cmp_lt_u16_e32 vcc_lo, 0x5f, v6
	s_delay_alu instid0(VALU_DEP_2) | instskip(SKIP_1) | instid1(VALU_DEP_2)
	v_mul_lo_u16 v2, 0x60, v1
	v_and_b32_e32 v1, 0xffff, v1
	v_sub_nc_u16 v2, v12, v2
	s_delay_alu instid0(VALU_DEP_2) | instskip(NEXT) | instid1(VALU_DEP_2)
	v_mul_u32_u24_e32 v1, 0x120, v1
	v_and_b32_e32 v2, 0xff, v2
	s_delay_alu instid0(VALU_DEP_1) | instskip(NEXT) | instid1(VALU_DEP_3)
	v_lshlrev_b32_e32 v3, 5, v2
	v_add_nc_u32_e32 v1, v1, v2
	s_delay_alu instid0(VALU_DEP_1)
	v_lshl_add_u32 v1, v1, 4, v0
	s_wait_loadcnt_dscnt 0x101
	v_mul_f64_e32 v[21:22], v[15:16], v[29:30]
	scratch_store_b128 off, v[27:30], off offset:516 ; 16-byte Folded Spill
	v_fma_f64 v[25:26], v[13:14], v[27:28], -v[21:22]
	v_mul_f64_e32 v[13:14], v[13:14], v[29:30]
	s_delay_alu instid0(VALU_DEP_1)
	v_fma_f64 v[27:28], v[15:16], v[27:28], v[13:14]
	ds_load_b128 v[13:16], v71 offset:21504
	ds_load_b128 v[21:24], v71 offset:23296
	s_clause 0x1
	global_load_b128 v[156:159], v3, s[10:11] offset:1504
	global_load_b128 v[136:139], v3, s[10:11] offset:1520
	v_and_b32_e32 v3, 0xffff, v8
	s_delay_alu instid0(VALU_DEP_1) | instskip(NEXT) | instid1(VALU_DEP_1)
	v_mul_u32_u24_e32 v3, 0xaaab, v3
	v_lshrrev_b32_e32 v3, 22, v3
	s_delay_alu instid0(VALU_DEP_1) | instskip(SKIP_2) | instid1(VALU_DEP_2)
	v_mul_lo_u16 v5, 0x60, v3
	s_wait_loadcnt_dscnt 0x201
	v_mul_f64_e32 v[29:30], v[15:16], v[118:119]
	v_sub_nc_u16 v5, v8, v5
	s_delay_alu instid0(VALU_DEP_2) | instskip(SKIP_1) | instid1(VALU_DEP_1)
	v_fma_f64 v[29:30], v[13:14], v[116:117], -v[29:30]
	v_mul_f64_e32 v[13:14], v[13:14], v[118:119]
	v_fma_f64 v[31:32], v[15:16], v[116:117], v[13:14]
	s_wait_loadcnt 0x1
	v_mul_f64_e32 v[12:13], v[19:20], v[158:159]
	s_delay_alu instid0(VALU_DEP_1) | instskip(SKIP_1) | instid1(VALU_DEP_1)
	v_fma_f64 v[33:34], v[17:18], v[156:157], -v[12:13]
	v_mul_f64_e32 v[12:13], v[17:18], v[158:159]
	v_fma_f64 v[35:36], v[19:20], v[156:157], v[12:13]
	s_wait_loadcnt_dscnt 0x0
	v_mul_f64_e32 v[12:13], v[23:24], v[138:139]
	s_delay_alu instid0(VALU_DEP_1) | instskip(SKIP_1) | instid1(VALU_DEP_1)
	v_fma_f64 v[37:38], v[21:22], v[136:137], -v[12:13]
	v_mul_f64_e32 v[12:13], v[21:22], v[138:139]
	v_fma_f64 v[39:40], v[23:24], v[136:137], v[12:13]
	v_lshlrev_b16 v12, 5, v5
	s_delay_alu instid0(VALU_DEP_1) | instskip(NEXT) | instid1(VALU_DEP_1)
	v_and_b32_e32 v12, 0xffff, v12
	v_add_co_u32 v12, s14, s10, v12
	s_wait_alu 0xf1ff
	v_add_co_ci_u32_e64 v13, null, s11, 0, s14
	s_clause 0x1
	global_load_b128 v[152:155], v[12:13], off offset:1504
	global_load_b128 v[144:147], v[12:13], off offset:1520
	ds_load_b128 v[12:15], v71 offset:14336
	ds_load_b128 v[16:19], v71 offset:16128
	s_wait_loadcnt_dscnt 0x101
	v_mul_f64_e32 v[20:21], v[14:15], v[154:155]
	s_delay_alu instid0(VALU_DEP_1) | instskip(SKIP_1) | instid1(VALU_DEP_1)
	v_fma_f64 v[41:42], v[12:13], v[152:153], -v[20:21]
	v_mul_f64_e32 v[12:13], v[12:13], v[154:155]
	v_fma_f64 v[43:44], v[14:15], v[152:153], v[12:13]
	ds_load_b128 v[12:15], v71 offset:25088
	ds_load_b128 v[20:23], v71 offset:26880
	s_wait_loadcnt_dscnt 0x1
	v_mul_f64_e32 v[45:46], v[14:15], v[146:147]
	s_delay_alu instid0(VALU_DEP_1) | instskip(SKIP_1) | instid1(VALU_DEP_2)
	v_fma_f64 v[45:46], v[12:13], v[144:145], -v[45:46]
	v_mul_f64_e32 v[12:13], v[12:13], v[146:147]
	v_add_f64_e32 v[57:58], v[41:42], v[45:46]
	s_delay_alu instid0(VALU_DEP_2) | instskip(SKIP_1) | instid1(VALU_DEP_1)
	v_fma_f64 v[47:48], v[14:15], v[144:145], v[12:13]
	v_and_b32_e32 v12, 0xffff, v11
	v_mul_u32_u24_e32 v12, 0xaaab, v12
	s_delay_alu instid0(VALU_DEP_1) | instskip(NEXT) | instid1(VALU_DEP_1)
	v_lshrrev_b32_e32 v69, 22, v12
	v_mul_lo_u16 v12, 0x60, v69
	s_delay_alu instid0(VALU_DEP_1) | instskip(NEXT) | instid1(VALU_DEP_1)
	v_sub_nc_u16 v96, v11, v12
	v_lshlrev_b16 v11, 5, v96
	s_delay_alu instid0(VALU_DEP_1) | instskip(NEXT) | instid1(VALU_DEP_1)
	v_and_b32_e32 v11, 0xffff, v11
	v_add_co_u32 v11, s14, s10, v11
	s_wait_alu 0xf1ff
	v_add_co_ci_u32_e64 v12, null, s11, 0, s14
	s_clause 0x1
	global_load_b128 v[172:175], v[11:12], off offset:1504
	global_load_b128 v[168:171], v[11:12], off offset:1520
	v_add_f64_e32 v[59:60], v[43:44], v[47:48]
	s_wait_loadcnt 0x1
	v_mul_f64_e32 v[11:12], v[18:19], v[174:175]
	s_delay_alu instid0(VALU_DEP_1) | instskip(SKIP_1) | instid1(VALU_DEP_1)
	v_fma_f64 v[49:50], v[16:17], v[172:173], -v[11:12]
	v_mul_f64_e32 v[11:12], v[16:17], v[174:175]
	v_fma_f64 v[51:52], v[18:19], v[172:173], v[11:12]
	s_wait_loadcnt_dscnt 0x0
	v_mul_f64_e32 v[11:12], v[22:23], v[170:171]
	s_delay_alu instid0(VALU_DEP_1) | instskip(SKIP_1) | instid1(VALU_DEP_1)
	v_fma_f64 v[53:54], v[20:21], v[168:169], -v[11:12]
	v_mul_f64_e32 v[11:12], v[20:21], v[170:171]
	v_fma_f64 v[55:56], v[22:23], v[168:169], v[11:12]
	v_and_b32_e32 v11, 0xffff, v10
	s_delay_alu instid0(VALU_DEP_1) | instskip(NEXT) | instid1(VALU_DEP_1)
	v_mul_u32_u24_e32 v11, 0xaaab, v11
	v_lshrrev_b32_e32 v97, 22, v11
	s_delay_alu instid0(VALU_DEP_1) | instskip(NEXT) | instid1(VALU_DEP_1)
	v_mul_lo_u16 v11, 0x60, v97
	v_sub_nc_u16 v98, v10, v11
	s_delay_alu instid0(VALU_DEP_1) | instskip(NEXT) | instid1(VALU_DEP_1)
	v_lshlrev_b16 v10, 5, v98
	v_and_b32_e32 v10, 0xffff, v10
	s_delay_alu instid0(VALU_DEP_1)
	v_add_co_u32 v10, s14, s10, v10
	s_wait_alu 0xf1ff
	v_add_co_ci_u32_e64 v11, null, s11, 0, s14
	s_clause 0x1
	global_load_b128 v[176:179], v[10:11], off offset:1504
	global_load_b128 v[180:183], v[10:11], off offset:1520
	ds_load_b128 v[10:13], v71 offset:17920
	ds_load_b128 v[14:17], v71 offset:19712
	s_wait_loadcnt_dscnt 0x101
	v_mul_f64_e32 v[18:19], v[12:13], v[178:179]
	s_delay_alu instid0(VALU_DEP_1) | instskip(SKIP_1) | instid1(VALU_DEP_1)
	v_fma_f64 v[65:66], v[10:11], v[176:177], -v[18:19]
	v_mul_f64_e32 v[10:11], v[10:11], v[178:179]
	v_fma_f64 v[67:68], v[12:13], v[176:177], v[10:11]
	ds_load_b128 v[10:13], v71 offset:28672
	ds_load_b128 v[18:21], v71 offset:30464
	s_wait_loadcnt_dscnt 0x1
	v_mul_f64_e32 v[22:23], v[12:13], v[182:183]
	s_delay_alu instid0(VALU_DEP_1) | instskip(SKIP_1) | instid1(VALU_DEP_2)
	v_fma_f64 v[128:129], v[10:11], v[180:181], -v[22:23]
	v_mul_f64_e32 v[10:11], v[10:11], v[182:183]
	v_add_f64_e32 v[142:143], v[65:66], v[128:129]
	s_delay_alu instid0(VALU_DEP_2) | instskip(SKIP_1) | instid1(VALU_DEP_1)
	v_fma_f64 v[130:131], v[12:13], v[180:181], v[10:11]
	v_and_b32_e32 v10, 0xffff, v9
	v_mul_u32_u24_e32 v10, 0xaaab, v10
	s_delay_alu instid0(VALU_DEP_1) | instskip(NEXT) | instid1(VALU_DEP_1)
	v_lshrrev_b32_e32 v99, 22, v10
	v_mul_lo_u16 v10, 0x60, v99
	s_delay_alu instid0(VALU_DEP_1) | instskip(NEXT) | instid1(VALU_DEP_1)
	v_sub_nc_u16 v100, v9, v10
	v_lshlrev_b16 v9, 5, v100
	s_delay_alu instid0(VALU_DEP_1) | instskip(NEXT) | instid1(VALU_DEP_1)
	v_and_b32_e32 v9, 0xffff, v9
	v_add_co_u32 v9, s14, s10, v9
	s_wait_alu 0xf1ff
	v_add_co_ci_u32_e64 v10, null, s11, 0, s14
	s_clause 0x1
	global_load_b128 v[188:191], v[9:10], off offset:1504
	global_load_b128 v[120:123], v[9:10], off offset:1520
	v_add_f64_e32 v[150:151], v[67:68], v[130:131]
	s_wait_loadcnt 0x1
	v_mul_f64_e32 v[9:10], v[16:17], v[190:191]
	s_delay_alu instid0(VALU_DEP_1) | instskip(SKIP_1) | instid1(VALU_DEP_1)
	v_fma_f64 v[132:133], v[14:15], v[188:189], -v[9:10]
	v_mul_f64_e32 v[9:10], v[14:15], v[190:191]
	v_fma_f64 v[134:135], v[16:17], v[188:189], v[9:10]
	s_wait_loadcnt_dscnt 0x0
	v_mul_f64_e32 v[9:10], v[20:21], v[122:123]
	s_delay_alu instid0(VALU_DEP_1) | instskip(SKIP_2) | instid1(VALU_DEP_2)
	v_fma_f64 v[148:149], v[18:19], v[120:121], -v[9:10]
	v_mul_f64_e32 v[9:10], v[18:19], v[122:123]
	v_add_f64_e32 v[17:18], v[25:26], v[29:30]
	v_fma_f64 v[140:141], v[20:21], v[120:121], v[9:10]
	ds_load_b128 v[9:12], v71
	ds_load_b128 v[13:16], v71 offset:1792
	v_add_f64_e64 v[21:22], v[27:28], -v[31:32]
	s_wait_dscnt 0x1
	v_fma_f64 v[19:20], v[17:18], -0.5, v[9:10]
	v_add_f64_e32 v[17:18], v[27:28], v[31:32]
	v_add_f64_e32 v[9:10], v[9:10], v[25:26]
	v_add_f64_e64 v[25:26], v[25:26], -v[29:30]
	s_delay_alu instid0(VALU_DEP_3)
	v_fma_f64 v[23:24], v[17:18], -0.5, v[11:12]
	v_fma_f64 v[17:18], v[21:22], s[2:3], v[19:20]
	v_fma_f64 v[21:22], v[21:22], s[12:13], v[19:20]
	v_add_f64_e32 v[11:12], v[11:12], v[27:28]
	v_add_f64_e32 v[9:10], v[9:10], v[29:30]
	v_add_f64_e64 v[29:30], v[35:36], -v[39:40]
	v_fma_f64 v[19:20], v[25:26], s[12:13], v[23:24]
	v_fma_f64 v[23:24], v[25:26], s[2:3], v[23:24]
	v_add_f64_e32 v[25:26], v[33:34], v[37:38]
	v_add_f64_e32 v[11:12], v[11:12], v[31:32]
	s_wait_dscnt 0x0
	s_delay_alu instid0(VALU_DEP_2) | instskip(SKIP_3) | instid1(VALU_DEP_3)
	v_fma_f64 v[27:28], v[25:26], -0.5, v[13:14]
	v_add_f64_e32 v[25:26], v[35:36], v[39:40]
	v_add_f64_e32 v[13:14], v[13:14], v[33:34]
	v_add_f64_e64 v[33:34], v[33:34], -v[37:38]
	v_fma_f64 v[31:32], v[25:26], -0.5, v[15:16]
	v_add_f64_e32 v[15:16], v[15:16], v[35:36]
	s_delay_alu instid0(VALU_DEP_4)
	v_add_f64_e32 v[13:14], v[13:14], v[37:38]
	v_fma_f64 v[25:26], v[29:30], s[2:3], v[27:28]
	v_fma_f64 v[29:30], v[29:30], s[12:13], v[27:28]
	;; [unrolled: 1-line block ×3, first 2 shown]
	v_add_f64_e32 v[15:16], v[15:16], v[39:40]
	v_fma_f64 v[31:32], v[33:34], s[2:3], v[31:32]
	ds_load_b128 v[33:36], v71 offset:3584
	ds_load_b128 v[37:40], v71 offset:5376
	s_wait_dscnt 0x1
	v_fma_f64 v[59:60], v[59:60], -0.5, v[35:36]
	v_add_f64_e32 v[35:36], v[35:36], v[43:44]
	v_fma_f64 v[57:58], v[57:58], -0.5, v[33:34]
	v_add_f64_e32 v[33:34], v[33:34], v[41:42]
	v_add_f64_e64 v[43:44], v[43:44], -v[47:48]
	s_delay_alu instid0(VALU_DEP_4) | instskip(SKIP_1) | instid1(VALU_DEP_4)
	v_add_f64_e32 v[35:36], v[35:36], v[47:48]
	v_add_f64_e64 v[47:48], v[41:42], -v[45:46]
	v_add_f64_e32 v[33:34], v[33:34], v[45:46]
	s_delay_alu instid0(VALU_DEP_4)
	v_fma_f64 v[41:42], v[43:44], s[2:3], v[57:58]
	v_fma_f64 v[45:46], v[43:44], s[12:13], v[57:58]
	v_add_f64_e32 v[57:58], v[49:50], v[53:54]
	v_fma_f64 v[43:44], v[47:48], s[12:13], v[59:60]
	v_fma_f64 v[47:48], v[47:48], s[2:3], v[59:60]
	v_add_f64_e32 v[59:60], v[51:52], v[55:56]
	s_wait_dscnt 0x0
	s_delay_alu instid0(VALU_DEP_4) | instskip(SKIP_1) | instid1(VALU_DEP_3)
	v_fma_f64 v[57:58], v[57:58], -0.5, v[37:38]
	v_add_f64_e32 v[37:38], v[37:38], v[49:50]
	v_fma_f64 v[59:60], v[59:60], -0.5, v[39:40]
	v_add_f64_e32 v[39:40], v[39:40], v[51:52]
	v_add_f64_e64 v[51:52], v[51:52], -v[55:56]
	s_delay_alu instid0(VALU_DEP_4) | instskip(NEXT) | instid1(VALU_DEP_3)
	v_add_f64_e32 v[37:38], v[37:38], v[53:54]
	v_add_f64_e32 v[39:40], v[39:40], v[55:56]
	v_add_f64_e64 v[55:56], v[49:50], -v[53:54]
	s_delay_alu instid0(VALU_DEP_4) | instskip(SKIP_1) | instid1(VALU_DEP_3)
	v_fma_f64 v[49:50], v[51:52], s[2:3], v[57:58]
	v_fma_f64 v[53:54], v[51:52], s[12:13], v[57:58]
	;; [unrolled: 1-line block ×4, first 2 shown]
	ds_load_b128 v[57:60], v71 offset:7168
	ds_load_b128 v[61:64], v71 offset:8960
	global_wb scope:SCOPE_SE
	s_wait_storecnt_dscnt 0x0
	s_barrier_signal -1
	s_barrier_wait -1
	global_inv scope:SCOPE_SE
	v_fma_f64 v[142:143], v[142:143], -0.5, v[57:58]
	v_add_f64_e32 v[57:58], v[57:58], v[65:66]
	v_fma_f64 v[150:151], v[150:151], -0.5, v[59:60]
	v_add_f64_e32 v[59:60], v[59:60], v[67:68]
	v_add_f64_e64 v[67:68], v[67:68], -v[130:131]
	s_delay_alu instid0(VALU_DEP_4) | instskip(SKIP_1) | instid1(VALU_DEP_4)
	v_add_f64_e32 v[57:58], v[57:58], v[128:129]
	v_add_f64_e64 v[128:129], v[65:66], -v[128:129]
	v_add_f64_e32 v[59:60], v[59:60], v[130:131]
	s_delay_alu instid0(VALU_DEP_4)
	v_fma_f64 v[65:66], v[67:68], s[2:3], v[142:143]
	v_fma_f64 v[236:237], v[67:68], s[12:13], v[142:143]
	v_add_f64_e32 v[130:131], v[134:135], v[140:141]
	v_fma_f64 v[67:68], v[128:129], s[12:13], v[150:151]
	v_fma_f64 v[238:239], v[128:129], s[2:3], v[150:151]
	v_add_f64_e32 v[128:129], v[132:133], v[148:149]
	s_delay_alu instid0(VALU_DEP_4) | instskip(SKIP_2) | instid1(VALU_DEP_4)
	v_fma_f64 v[130:131], v[130:131], -0.5, v[63:64]
	v_add_f64_e32 v[63:64], v[63:64], v[134:135]
	v_add_f64_e64 v[134:135], v[134:135], -v[140:141]
	v_fma_f64 v[128:129], v[128:129], -0.5, v[61:62]
	v_add_f64_e32 v[61:62], v[61:62], v[132:133]
	s_delay_alu instid0(VALU_DEP_4) | instskip(NEXT) | instid1(VALU_DEP_3)
	v_add_f64_e32 v[142:143], v[63:64], v[140:141]
	v_fma_f64 v[248:249], v[134:135], s[12:13], v[128:129]
	s_delay_alu instid0(VALU_DEP_3) | instskip(SKIP_2) | instid1(VALU_DEP_2)
	v_add_f64_e32 v[140:141], v[61:62], v[148:149]
	v_add_f64_e64 v[61:62], v[132:133], -v[148:149]
	v_fma_f64 v[148:149], v[134:135], s[2:3], v[128:129]
	v_fma_f64 v[150:151], v[61:62], s[12:13], v[130:131]
	;; [unrolled: 1-line block ×3, first 2 shown]
	s_wait_alu 0xfffd
	v_cndmask_b32_e64 v61, 0, 0x120, vcc_lo
	s_load_b64 s[2:3], s[0:1], 0x38
	v_cmp_gt_u16_e32 vcc_lo, 64, v6
	s_delay_alu instid0(VALU_DEP_2) | instskip(NEXT) | instid1(VALU_DEP_1)
	v_add_nc_u32_e32 v4, v4, v61
	v_lshl_add_u32 v4, v4, 4, v0
	ds_store_b128 v4, v[9:12]
	ds_store_b128 v4, v[17:20] offset:1536
	scratch_store_b32 off, v4, off offset:600 ; 4-byte Folded Spill
	ds_store_b128 v4, v[21:24] offset:3072
	ds_store_b128 v1, v[13:16]
	ds_store_b128 v1, v[25:28] offset:1536
	scratch_store_b32 off, v1, off offset:584 ; 4-byte Folded Spill
	ds_store_b128 v1, v[29:32] offset:3072
	v_mad_u16 v1, 0x120, v3, v5
	v_add_co_u32 v4, s0, s8, v7
	s_wait_alu 0xf1ff
	v_add_co_ci_u32_e64 v5, null, s9, 0, s0
	s_delay_alu instid0(VALU_DEP_3) | instskip(NEXT) | instid1(VALU_DEP_1)
	v_and_b32_e32 v1, 0xffff, v1
	v_lshl_add_u32 v1, v1, 4, v0
	ds_store_b128 v1, v[33:36]
	ds_store_b128 v1, v[41:44] offset:1536
	scratch_store_b32 off, v1, off offset:588 ; 4-byte Folded Spill
	ds_store_b128 v1, v[45:48] offset:3072
	v_mad_u16 v1, 0x120, v69, v96
	s_delay_alu instid0(VALU_DEP_1) | instskip(NEXT) | instid1(VALU_DEP_1)
	v_and_b32_e32 v1, 0xffff, v1
	v_lshl_add_u32 v1, v1, 4, v0
	ds_store_b128 v1, v[37:40]
	ds_store_b128 v1, v[49:52] offset:1536
	scratch_store_b32 off, v1, off offset:592 ; 4-byte Folded Spill
	ds_store_b128 v1, v[53:56] offset:3072
	v_mad_u16 v1, 0x120, v97, v98
	s_delay_alu instid0(VALU_DEP_1) | instskip(NEXT) | instid1(VALU_DEP_1)
	v_and_b32_e32 v1, 0xffff, v1
	v_lshl_add_u32 v3, v1, 4, v0
	v_mad_u16 v1, 0x120, v99, v100
	ds_store_b128 v3, v[57:60]
	ds_store_b128 v3, v[65:68] offset:1536
	v_and_b32_e32 v1, 0xffff, v1
	scratch_store_b32 off, v3, off offset:596 ; 4-byte Folded Spill
	v_lshl_add_u32 v1, v1, 4, v0
	ds_store_b128 v3, v[236:239] offset:3072
	ds_store_b128 v1, v[140:143]
	ds_store_b128 v1, v[148:151] offset:1536
	scratch_store_b32 off, v1, off offset:604 ; 4-byte Folded Spill
	ds_store_b128 v1, v[248:251] offset:3072
	global_wb scope:SCOPE_SE
	s_wait_storecnt_dscnt 0x0
	s_wait_kmcnt 0x0
	s_barrier_signal -1
	s_barrier_wait -1
	global_inv scope:SCOPE_SE
	ds_load_b128 v[244:247], v71
	ds_load_b128 v[240:243], v71 offset:1792
	ds_load_b128 v[200:203], v71 offset:4608
	;; [unrolled: 1-line block ×13, first 2 shown]
	s_and_saveexec_b32 s0, vcc_lo
	s_cbranch_execz .LBB0_3
; %bb.2:
	ds_load_b128 v[236:239], v71 offset:3584
	ds_load_b128 v[140:143], v71 offset:8192
	;; [unrolled: 1-line block ×7, first 2 shown]
.LBB0_3:
	s_wait_alu 0xfffe
	s_or_b32 exec_lo, exec_lo, s0
	v_mad_co_u64_u32 v[6:7], null, 0x60, v70, s[10:11]
	v_subrev_nc_u32_e32 v3, 64, v70
	s_mov_b32 s16, 0xe976ee23
	s_mov_b32 s17, 0xbfe11646
	;; [unrolled: 1-line block ×4, first 2 shown]
	v_cndmask_b32_e32 v3, v3, v8, vcc_lo
	s_clause 0x1
	global_load_b128 v[184:187], v[6:7], off offset:4576
	global_load_b128 v[192:195], v[6:7], off offset:4592
	s_mov_b32 s15, 0x3febfeb5
	s_mov_b32 s13, 0x3fe77f67
	;; [unrolled: 1-line block ×11, first 2 shown]
	s_wait_alu 0xfffe
	s_mov_b32 s22, s12
	v_lshl_add_u32 v0, v70, 4, v0
	s_wait_loadcnt_dscnt 0x10b
	v_mul_f64_e32 v[9:10], v[202:203], v[186:187]
	s_delay_alu instid0(VALU_DEP_1) | instskip(SKIP_1) | instid1(VALU_DEP_1)
	v_fma_f64 v[54:55], v[200:201], v[184:185], -v[9:10]
	v_mul_f64_e32 v[9:10], v[200:201], v[186:187]
	v_fma_f64 v[56:57], v[202:203], v[184:185], v[9:10]
	s_wait_loadcnt_dscnt 0x9
	v_mul_f64_e32 v[9:10], v[198:199], v[194:195]
	s_delay_alu instid0(VALU_DEP_1) | instskip(SKIP_1) | instid1(VALU_DEP_1)
	v_fma_f64 v[58:59], v[196:197], v[192:193], -v[9:10]
	v_mul_f64_e32 v[9:10], v[196:197], v[194:195]
	v_fma_f64 v[60:61], v[198:199], v[192:193], v[9:10]
	s_clause 0x1
	global_load_b128 v[196:199], v[6:7], off offset:4656
	global_load_b128 v[200:203], v[6:7], off offset:4640
	s_wait_loadcnt_dscnt 0x101
	v_mul_f64_e32 v[9:10], v[210:211], v[198:199]
	s_delay_alu instid0(VALU_DEP_1) | instskip(SKIP_1) | instid1(VALU_DEP_1)
	v_fma_f64 v[62:63], v[208:209], v[196:197], -v[9:10]
	v_mul_f64_e32 v[9:10], v[208:209], v[198:199]
	v_fma_f64 v[64:65], v[210:211], v[196:197], v[9:10]
	s_wait_loadcnt 0x0
	v_mul_f64_e32 v[9:10], v[206:207], v[202:203]
	s_delay_alu instid0(VALU_DEP_1) | instskip(SKIP_1) | instid1(VALU_DEP_1)
	v_fma_f64 v[66:67], v[204:205], v[200:201], -v[9:10]
	v_mul_f64_e32 v[9:10], v[204:205], v[202:203]
	v_fma_f64 v[68:69], v[206:207], v[200:201], v[9:10]
	s_clause 0x1
	global_load_b128 v[204:207], v[6:7], off offset:15328
	global_load_b128 v[208:211], v[6:7], off offset:15344
	s_wait_loadcnt 0x1
	v_mul_f64_e32 v[9:10], v[218:219], v[206:207]
	s_delay_alu instid0(VALU_DEP_1) | instskip(SKIP_1) | instid1(VALU_DEP_1)
	v_fma_f64 v[24:25], v[216:217], v[204:205], -v[9:10]
	v_mul_f64_e32 v[9:10], v[216:217], v[206:207]
	v_fma_f64 v[26:27], v[218:219], v[204:205], v[9:10]
	s_wait_loadcnt 0x0
	v_mul_f64_e32 v[9:10], v[214:215], v[210:211]
	s_delay_alu instid0(VALU_DEP_1) | instskip(SKIP_1) | instid1(VALU_DEP_1)
	v_fma_f64 v[34:35], v[212:213], v[208:209], -v[9:10]
	v_mul_f64_e32 v[9:10], v[212:213], v[210:211]
	v_fma_f64 v[36:37], v[214:215], v[208:209], v[9:10]
	s_clause 0x1
	global_load_b128 v[212:215], v[6:7], off offset:15408
	global_load_b128 v[216:219], v[6:7], off offset:15392
	s_wait_loadcnt_dscnt 0x100
	v_mul_f64_e32 v[9:10], v[226:227], v[214:215]
	s_delay_alu instid0(VALU_DEP_1) | instskip(SKIP_1) | instid1(VALU_DEP_1)
	v_fma_f64 v[38:39], v[224:225], v[212:213], -v[9:10]
	v_mul_f64_e32 v[9:10], v[224:225], v[214:215]
	v_fma_f64 v[40:41], v[226:227], v[212:213], v[9:10]
	s_wait_loadcnt 0x0
	v_mul_f64_e32 v[9:10], v[222:223], v[218:219]
	s_delay_alu instid0(VALU_DEP_1) | instskip(SKIP_1) | instid1(VALU_DEP_1)
	v_fma_f64 v[42:43], v[220:221], v[216:217], -v[9:10]
	v_mul_f64_e32 v[9:10], v[220:221], v[218:219]
	v_fma_f64 v[44:45], v[222:223], v[216:217], v[9:10]
	s_clause 0x1
	global_load_b128 v[220:223], v[6:7], off offset:4608
	global_load_b128 v[224:227], v[6:7], off offset:4624
	s_wait_loadcnt 0x1
	v_mul_f64_e32 v[9:10], v[234:235], v[222:223]
	s_delay_alu instid0(VALU_DEP_1) | instskip(SKIP_1) | instid1(VALU_DEP_1)
	v_fma_f64 v[1:2], v[232:233], v[220:221], -v[9:10]
	v_mul_f64_e32 v[9:10], v[232:233], v[222:223]
	v_fma_f64 v[96:97], v[234:235], v[220:221], v[9:10]
	s_wait_loadcnt 0x0
	v_mul_f64_e32 v[9:10], v[230:231], v[226:227]
	s_delay_alu instid0(VALU_DEP_1) | instskip(SKIP_1) | instid1(VALU_DEP_1)
	v_fma_f64 v[98:99], v[228:229], v[224:225], -v[9:10]
	v_mul_f64_e32 v[9:10], v[228:229], v[226:227]
	v_fma_f64 v[100:101], v[230:231], v[224:225], v[9:10]
	s_clause 0x1
	global_load_b128 v[228:231], v[6:7], off offset:15360
	global_load_b128 v[232:235], v[6:7], off offset:15376
	s_wait_loadcnt 0x1
	v_mul_f64_e32 v[6:7], v[134:135], v[230:231]
	s_delay_alu instid0(VALU_DEP_1) | instskip(SKIP_1) | instid1(VALU_DEP_1)
	v_fma_f64 v[48:49], v[132:133], v[228:229], -v[6:7]
	v_mul_f64_e32 v[6:7], v[132:133], v[230:231]
	v_fma_f64 v[46:47], v[134:135], v[228:229], v[6:7]
	s_wait_loadcnt 0x0
	v_mul_f64_e32 v[6:7], v[130:131], v[234:235]
	v_add_f64_e32 v[134:135], v[56:57], v[64:65]
	v_add_f64_e64 v[64:65], v[56:57], -v[64:65]
	s_delay_alu instid0(VALU_DEP_3) | instskip(SKIP_4) | instid1(VALU_DEP_4)
	v_fma_f64 v[52:53], v[128:129], v[232:233], -v[6:7]
	v_mul_f64_e32 v[6:7], v[128:129], v[234:235]
	v_add_f64_e32 v[128:129], v[58:59], v[66:67]
	v_add_f64_e64 v[58:59], v[58:59], -v[66:67]
	v_add_f64_e64 v[66:67], v[100:101], -v[96:97]
	v_fma_f64 v[50:51], v[130:131], v[232:233], v[6:7]
	v_mul_i32_i24_e32 v6, 0x60, v3
	v_mul_hi_i32_i24_e32 v3, 0x60, v3
	v_add_f64_e32 v[130:131], v[1:2], v[98:99]
	v_add_f64_e64 v[1:2], v[98:99], -v[1:2]
	v_add_f64_e64 v[114:115], v[64:65], -v[66:67]
	v_add_co_u32 v22, s0, s10, v6
	s_wait_alu 0xf1ff
	v_add_co_ci_u32_e64 v23, s0, s11, v3, s0
	s_clause 0x1
	global_load_b128 v[10:13], v[22:23], off offset:4576
	global_load_b128 v[14:17], v[22:23], off offset:4592
	s_mov_b32 s10, 0x36b3c0b5
	s_mov_b32 s11, 0x3fac98ee
	;; [unrolled: 1-line block ×4, first 2 shown]
	v_add_f64_e64 v[56:57], v[1:2], -v[58:59]
	s_wait_loadcnt 0x1
	scratch_store_b128 off, v[10:13], off offset:628 ; 16-byte Folded Spill
	s_wait_loadcnt 0x0
	scratch_store_b128 off, v[14:17], off offset:644 ; 16-byte Folded Spill
	s_clause 0x1
	global_load_b128 v[18:21], v[22:23], off offset:4656
	global_load_b128 v[28:31], v[22:23], off offset:4640
	v_mul_f64_e32 v[6:7], v[142:143], v[12:13]
	v_mul_f64_e32 v[8:9], v[140:141], v[12:13]
	s_delay_alu instid0(VALU_DEP_2) | instskip(NEXT) | instid1(VALU_DEP_2)
	v_fma_f64 v[6:7], v[140:141], v[10:11], -v[6:7]
	v_fma_f64 v[8:9], v[142:143], v[10:11], v[8:9]
	v_mul_f64_e32 v[10:11], v[150:151], v[16:17]
	v_add_f64_e32 v[140:141], v[24:25], v[38:39]
	v_add_f64_e32 v[142:143], v[34:35], v[42:43]
	v_add_f64_e64 v[38:39], v[24:25], -v[38:39]
	s_delay_alu instid0(VALU_DEP_4) | instskip(SKIP_2) | instid1(VALU_DEP_2)
	v_fma_f64 v[12:13], v[148:149], v[14:15], -v[10:11]
	v_mul_f64_e32 v[10:11], v[148:149], v[16:17]
	v_add_f64_e32 v[148:149], v[48:49], v[52:53]
	v_fma_f64 v[10:11], v[150:151], v[14:15], v[10:11]
	v_add_f64_e32 v[150:151], v[142:143], v[140:141]
	s_delay_alu instid0(VALU_DEP_1) | instskip(NEXT) | instid1(VALU_DEP_1)
	v_add_f64_e32 v[150:151], v[148:149], v[150:151]
	v_add_f64_e32 v[240:241], v[240:241], v[150:151]
	s_wait_loadcnt 0x1
	v_mul_f64_e32 v[14:15], v[166:167], v[20:21]
	v_mul_f64_e32 v[16:17], v[164:165], v[20:21]
	scratch_store_b128 off, v[18:21], off offset:660 ; 16-byte Folded Spill
	s_wait_loadcnt 0x0
	scratch_store_b128 off, v[28:31], off offset:676 ; 16-byte Folded Spill
	v_fma_f64 v[14:15], v[164:165], v[18:19], -v[14:15]
	v_fma_f64 v[16:17], v[166:167], v[18:19], v[16:17]
	v_mul_f64_e32 v[18:19], v[162:163], v[30:31]
	v_add_f64_e32 v[164:165], v[46:47], v[50:51]
	s_delay_alu instid0(VALU_DEP_2)
	v_fma_f64 v[20:21], v[160:161], v[28:29], -v[18:19]
	v_mul_f64_e32 v[18:19], v[160:161], v[30:31]
	s_clause 0x1
	global_load_b128 v[30:33], v[22:23], off offset:4608
	global_load_b128 v[102:105], v[22:23], off offset:4624
	v_add_f64_e32 v[160:161], v[26:27], v[40:41]
	v_add_f64_e64 v[40:41], v[26:27], -v[40:41]
	v_fma_f64 v[18:19], v[162:163], v[28:29], v[18:19]
	v_add_f64_e32 v[162:163], v[36:37], v[44:45]
	s_delay_alu instid0(VALU_DEP_1) | instskip(NEXT) | instid1(VALU_DEP_1)
	v_add_f64_e32 v[166:167], v[162:163], v[160:161]
	v_add_f64_e32 v[166:167], v[164:165], v[166:167]
	s_delay_alu instid0(VALU_DEP_1)
	v_add_f64_e32 v[242:243], v[242:243], v[166:167]
	s_wait_loadcnt 0x1
	v_mul_f64_e32 v[22:23], v[250:251], v[32:33]
	scratch_store_b128 off, v[30:33], off offset:692 ; 16-byte Folded Spill
	s_wait_loadcnt 0x0
	scratch_store_b128 off, v[102:105], off offset:708 ; 16-byte Folded Spill
	v_fma_f64 v[28:29], v[248:249], v[30:31], -v[22:23]
	v_mul_f64_e32 v[22:23], v[248:249], v[32:33]
	v_add_f64_e32 v[248:249], v[60:61], v[68:69]
	v_add_f64_e64 v[60:61], v[60:61], -v[68:69]
	s_delay_alu instid0(VALU_DEP_3) | instskip(SKIP_4) | instid1(VALU_DEP_4)
	v_fma_f64 v[22:23], v[250:251], v[30:31], v[22:23]
	v_mul_f64_e32 v[30:31], v[254:255], v[104:105]
	v_add_f64_e32 v[250:251], v[96:97], v[100:101]
	v_add_f64_e64 v[96:97], v[130:131], -v[128:129]
	v_add_f64_e64 v[98:99], v[248:249], -v[134:135]
	v_fma_f64 v[32:33], v[252:253], v[102:103], -v[30:31]
	v_mul_f64_e32 v[30:31], v[252:253], v[104:105]
	v_add_f64_e32 v[252:253], v[248:249], v[134:135]
	v_add_f64_e64 v[100:101], v[250:251], -v[248:249]
	v_add_f64_e32 v[248:249], v[66:67], v[60:61]
	v_mul_f64_e32 v[104:105], s[16:17], v[56:57]
	v_fma_f64 v[30:31], v[254:255], v[102:103], v[30:31]
	v_add_f64_e32 v[102:103], v[54:55], v[62:63]
	v_add_f64_e32 v[252:253], v[250:251], v[252:253]
	v_add_f64_e64 v[62:63], v[54:55], -v[62:63]
	v_add_f64_e32 v[54:55], v[1:2], v[58:59]
	s_wait_alu 0xfffe
	v_mul_f64_e32 v[56:57], s[10:11], v[100:101]
	v_add_f64_e32 v[110:111], v[248:249], v[64:65]
	v_add_f64_e64 v[254:255], v[60:61], -v[64:65]
	v_add_f64_e32 v[132:133], v[128:129], v[102:103]
	v_add_f64_e32 v[246:247], v[246:247], v[252:253]
	v_add_f64_e64 v[68:69], v[128:129], -v[102:103]
	v_add_f64_e64 v[128:129], v[58:59], -v[62:63]
	;; [unrolled: 1-line block ×3, first 2 shown]
	v_add_f64_e32 v[108:109], v[54:55], v[62:63]
	v_fma_f64 v[56:57], v[98:99], s[12:13], -v[56:57]
	v_add_f64_e64 v[102:103], v[102:103], -v[130:131]
	v_add_f64_e64 v[1:2], v[62:63], -v[1:2]
	v_mul_f64_e32 v[54:55], s[10:11], v[96:97]
	v_mul_f64_e32 v[64:65], s[14:15], v[254:255]
	v_add_f64_e32 v[132:133], v[130:131], v[132:133]
	s_wait_alu 0xf1ff
	v_fma_f64 v[248:249], v[252:253], s[0:1], v[246:247]
	v_mul_f64_e32 v[62:63], s[14:15], v[128:129]
	v_mul_f64_e32 v[106:107], s[16:17], v[58:59]
	v_fma_f64 v[58:59], v[128:129], s[14:15], -v[104:105]
	v_mul_f64_e32 v[102:103], s[20:21], v[102:103]
	v_fma_f64 v[54:55], v[68:69], s[12:13], -v[54:55]
	v_fma_f64 v[64:65], v[114:115], s[26:27], -v[64:65]
	v_add_f64_e32 v[244:245], v[244:245], v[132:133]
	v_add_f64_e32 v[112:113], v[56:57], v[248:249]
	v_fma_f64 v[62:63], v[1:2], s[26:27], -v[62:63]
	v_fma_f64 v[1:2], v[1:2], s[24:25], v[104:105]
	v_fma_f64 v[60:61], v[108:109], s[18:19], v[58:59]
	v_fma_f64 v[58:59], v[254:255], s[14:15], -v[106:107]
	v_fma_f64 v[66:67], v[68:69], s[22:23], -v[102:103]
	v_fma_f64 v[96:97], v[96:97], s[10:11], v[102:103]
	v_fma_f64 v[128:129], v[110:111], s[18:19], v[64:65]
	;; [unrolled: 1-line block ×4, first 2 shown]
	v_add_f64_e32 v[56:57], v[60:61], v[112:113]
	v_add_f64_e64 v[60:61], v[112:113], -v[60:61]
	v_add_f64_e64 v[112:113], v[134:135], -v[250:251]
	v_fma_f64 v[58:59], v[110:111], s[18:19], v[58:59]
	v_add_f64_e32 v[252:253], v[54:55], v[132:133]
	v_add_f64_e32 v[66:67], v[66:67], v[132:133]
	;; [unrolled: 1-line block ×3, first 2 shown]
	v_mul_f64_e32 v[112:113], s[20:21], v[112:113]
	s_delay_alu instid0(VALU_DEP_4) | instskip(SKIP_1) | instid1(VALU_DEP_3)
	v_add_f64_e64 v[54:55], v[252:253], -v[58:59]
	v_add_f64_e32 v[58:59], v[58:59], v[252:253]
	v_fma_f64 v[100:101], v[100:101], s[10:11], v[112:113]
	v_fma_f64 v[68:69], v[98:99], s[22:23], -v[112:113]
	v_fma_f64 v[98:99], v[108:109], s[18:19], v[62:63]
	v_add_f64_e32 v[62:63], v[128:129], v[66:67]
	v_add_f64_e64 v[66:67], v[66:67], -v[128:129]
	v_fma_f64 v[108:109], v[166:167], s[0:1], v[242:243]
	v_add_f64_e32 v[100:101], v[100:101], v[248:249]
	v_add_f64_e32 v[68:69], v[68:69], v[248:249]
	s_delay_alu instid0(VALU_DEP_2)
	v_add_f64_e64 v[254:255], v[100:101], -v[1:2]
	v_add_f64_e32 v[130:131], v[1:2], v[100:101]
	v_add_f64_e64 v[1:2], v[34:35], -v[42:43]
	v_add_f64_e64 v[42:43], v[52:53], -v[48:49]
	;; [unrolled: 1-line block ×3, first 2 shown]
	v_add_f64_e32 v[68:69], v[98:99], v[68:69]
	v_fma_f64 v[98:99], v[114:115], s[24:25], v[106:107]
	v_add_f64_e64 v[34:35], v[36:37], -v[44:45]
	v_add_f64_e64 v[44:45], v[50:51], -v[46:47]
	;; [unrolled: 1-line block ×6, first 2 shown]
	v_fma_f64 v[106:107], v[150:151], s[0:1], v[240:241]
	v_add_f64_e64 v[26:27], v[42:43], -v[1:2]
	v_add_f64_e32 v[24:25], v[42:43], v[1:2]
	v_add_f64_e64 v[1:2], v[1:2], -v[38:39]
	v_fma_f64 v[98:99], v[110:111], s[18:19], v[98:99]
	v_add_f64_e64 v[114:115], v[38:39], -v[42:43]
	v_add_f64_e64 v[36:37], v[44:45], -v[34:35]
	;; [unrolled: 1-line block ×3, first 2 shown]
	v_mul_f64_e32 v[102:103], s[16:17], v[26:27]
	v_add_f64_e32 v[100:101], v[24:25], v[38:39]
	v_mul_f64_e32 v[24:25], s[10:11], v[48:49]
	v_add_f64_e32 v[252:253], v[98:99], v[96:97]
	v_add_f64_e64 v[128:129], v[96:97], -v[98:99]
	v_add_f64_e32 v[96:97], v[44:45], v[34:35]
	v_add_f64_e64 v[98:99], v[34:35], -v[40:41]
	v_mul_f64_e32 v[104:105], s[16:17], v[36:37]
	v_mul_f64_e32 v[26:27], s[10:11], v[52:53]
	v_fma_f64 v[34:35], v[1:2], s[14:15], -v[102:103]
	v_mul_f64_e32 v[1:2], s[14:15], v[1:2]
	v_fma_f64 v[24:25], v[46:47], s[12:13], -v[24:25]
	v_add_f64_e32 v[96:97], v[96:97], v[40:41]
	v_mul_f64_e32 v[38:39], s[14:15], v[98:99]
	v_fma_f64 v[26:27], v[50:51], s[12:13], -v[26:27]
	v_fma_f64 v[36:37], v[100:101], s[18:19], v[34:35]
	v_fma_f64 v[34:35], v[98:99], s[14:15], -v[104:105]
	v_add_f64_e32 v[110:111], v[24:25], v[106:107]
	v_fma_f64 v[1:2], v[114:115], s[26:27], -v[1:2]
	v_fma_f64 v[38:39], v[132:133], s[26:27], -v[38:39]
	v_add_f64_e32 v[112:113], v[26:27], v[108:109]
	v_fma_f64 v[34:35], v[96:97], s[18:19], v[34:35]
	s_delay_alu instid0(VALU_DEP_4) | instskip(NEXT) | instid1(VALU_DEP_4)
	v_fma_f64 v[1:2], v[100:101], s[18:19], v[1:2]
	v_fma_f64 v[44:45], v[96:97], s[18:19], v[38:39]
	s_delay_alu instid0(VALU_DEP_4)
	v_add_f64_e32 v[26:27], v[36:37], v[112:113]
	v_add_f64_e64 v[36:37], v[112:113], -v[36:37]
	v_add_f64_e64 v[112:113], v[160:161], -v[164:165]
	;; [unrolled: 1-line block ×3, first 2 shown]
	v_add_f64_e32 v[34:35], v[34:35], v[110:111]
	v_add_f64_e64 v[110:111], v[140:141], -v[148:149]
	s_delay_alu instid0(VALU_DEP_1) | instskip(SKIP_1) | instid1(VALU_DEP_2)
	v_mul_f64_e32 v[98:99], s[20:21], v[110:111]
	v_mul_f64_e32 v[110:111], s[20:21], v[112:113]
	v_fma_f64 v[40:41], v[46:47], s[22:23], -v[98:99]
	s_delay_alu instid0(VALU_DEP_2) | instskip(SKIP_1) | instid1(VALU_DEP_3)
	v_fma_f64 v[42:43], v[50:51], s[22:23], -v[110:111]
	v_fma_f64 v[48:49], v[48:49], s[10:11], v[98:99]
	v_add_f64_e32 v[46:47], v[40:41], v[106:107]
	s_delay_alu instid0(VALU_DEP_3) | instskip(NEXT) | instid1(VALU_DEP_2)
	v_add_f64_e32 v[50:51], v[42:43], v[108:109]
	v_add_f64_e32 v[38:39], v[44:45], v[46:47]
	v_add_f64_e64 v[42:43], v[46:47], -v[44:45]
	v_fma_f64 v[46:47], v[132:133], s[24:25], v[104:105]
	s_delay_alu instid0(VALU_DEP_4)
	v_add_f64_e64 v[40:41], v[50:51], -v[1:2]
	v_add_f64_e32 v[44:45], v[1:2], v[50:51]
	v_fma_f64 v[1:2], v[114:115], s[24:25], v[102:103]
	v_fma_f64 v[50:51], v[52:53], s[10:11], v[110:111]
	v_add_f64_e32 v[104:105], v[10:11], v[18:19]
	v_add_f64_e64 v[10:11], v[10:11], -v[18:19]
	v_add_f64_e32 v[102:103], v[8:9], v[16:17]
	v_add_f64_e64 v[8:9], v[8:9], -v[16:17]
	v_fma_f64 v[52:53], v[96:97], s[18:19], v[46:47]
	v_add_f64_e32 v[96:97], v[48:49], v[106:107]
	v_add_f64_e32 v[106:107], v[22:23], v[30:31]
	v_fma_f64 v[1:2], v[100:101], s[18:19], v[1:2]
	v_add_f64_e32 v[98:99], v[50:51], v[108:109]
	v_add_f64_e32 v[108:109], v[104:105], v[102:103]
	;; [unrolled: 1-line block ×3, first 2 shown]
	v_add_f64_e64 v[50:51], v[96:97], -v[52:53]
	v_add_f64_e32 v[96:97], v[12:13], v[20:21]
	v_add_f64_e64 v[12:13], v[12:13], -v[20:21]
	v_add_f64_e64 v[20:21], v[32:33], -v[28:29]
	;; [unrolled: 1-line block ×3, first 2 shown]
	v_add_f64_e32 v[52:53], v[1:2], v[98:99]
	v_add_f64_e32 v[1:2], v[6:7], v[14:15]
	;; [unrolled: 1-line block ×3, first 2 shown]
	v_add_f64_e64 v[6:7], v[6:7], -v[14:15]
	v_add_f64_e64 v[14:15], v[30:31], -v[22:23]
	ds_store_b128 v0, v[252:255] offset:4608
	ds_store_b128 v0, v[62:65] offset:9216
	;; [unrolled: 1-line block ×6, first 2 shown]
	ds_store_b128 v71, v[244:247]
	ds_store_b128 v71, v[240:243] offset:1792
	ds_store_b128 v0, v[46:49] offset:6400
	;; [unrolled: 1-line block ×7, first 2 shown]
	v_add_f64_e64 v[26:27], v[102:103], -v[106:107]
	v_add_f64_e32 v[108:109], v[106:107], v[108:109]
	v_add_f64_e64 v[22:23], v[104:105], -v[102:103]
	v_add_f64_e64 v[24:25], v[106:107], -v[104:105]
	v_add_f64_e32 v[28:29], v[20:21], v[12:13]
	v_add_f64_e64 v[30:31], v[20:21], -v[12:13]
	v_add_f64_e32 v[100:101], v[96:97], v[1:2]
	v_add_f64_e64 v[16:17], v[96:97], -v[1:2]
	v_add_f64_e64 v[12:13], v[12:13], -v[6:7]
	;; [unrolled: 1-line block ×6, first 2 shown]
	v_add_f64_e32 v[250:251], v[238:239], v[108:109]
	v_add_f64_e32 v[28:29], v[28:29], v[6:7]
	;; [unrolled: 1-line block ×3, first 2 shown]
	v_add_f64_e64 v[10:11], v[10:11], -v[8:9]
	v_add_f64_e64 v[14:15], v[8:9], -v[14:15]
	v_add_f64_e32 v[100:101], v[98:99], v[100:101]
	v_mul_f64_e32 v[1:2], s[20:21], v[1:2]
	v_add_f64_e32 v[34:35], v[6:7], v[8:9]
	v_mul_f64_e32 v[6:7], s[16:17], v[30:31]
	v_mul_f64_e32 v[8:9], s[14:15], v[12:13]
	;; [unrolled: 1-line block ×3, first 2 shown]
	v_add_f64_e32 v[248:249], v[236:237], v[100:101]
	s_delay_alu instid0(VALU_DEP_4) | instskip(SKIP_3) | instid1(VALU_DEP_1)
	v_fma_f64 v[12:13], v[12:13], s[14:15], -v[6:7]
	v_fma_f64 v[6:7], v[20:21], s[24:25], v[6:7]
	v_fma_f64 v[8:9], v[20:21], s[26:27], -v[8:9]
	v_mul_f64_e32 v[20:21], s[16:17], v[32:33]
	v_fma_f64 v[32:33], v[10:11], s[14:15], -v[20:21]
	v_mul_f64_e32 v[10:11], s[10:11], v[18:19]
	v_fma_f64 v[20:21], v[14:15], s[24:25], v[20:21]
	v_fma_f64 v[14:15], v[14:15], s[26:27], -v[30:31]
	v_fma_f64 v[30:31], v[18:19], s[10:11], v[1:2]
	v_fma_f64 v[1:2], v[16:17], s[22:23], -v[1:2]
	v_fma_f64 v[18:19], v[16:17], s[12:13], -v[10:11]
	v_mul_f64_e32 v[10:11], s[20:21], v[26:27]
	v_mul_f64_e32 v[16:17], s[10:11], v[24:25]
	s_delay_alu instid0(VALU_DEP_2)
	v_fma_f64 v[36:37], v[22:23], s[22:23], -v[10:11]
	v_fma_f64 v[38:39], v[24:25], s[10:11], v[10:11]
	v_fma_f64 v[10:11], v[28:29], s[18:19], v[6:7]
	;; [unrolled: 1-line block ×5, first 2 shown]
	v_fma_f64 v[26:27], v[22:23], s[12:13], -v[16:17]
	v_fma_f64 v[16:17], v[34:35], s[18:19], v[14:15]
	v_fma_f64 v[24:25], v[28:29], s[18:19], v[8:9]
	v_fma_f64 v[8:9], v[34:35], s[18:19], v[32:33]
	v_add_f64_e32 v[14:15], v[18:19], v[20:21]
	v_add_f64_e32 v[18:19], v[1:2], v[20:21]
	v_fma_f64 v[1:2], v[108:109], s[0:1], v[250:251]
	v_add_f64_e32 v[20:21], v[30:31], v[20:21]
	s_delay_alu instid0(VALU_DEP_4) | instskip(NEXT) | instid1(VALU_DEP_4)
	v_add_f64_e32 v[140:141], v[8:9], v[14:15]
	v_add_f64_e64 v[148:149], v[18:19], -v[16:17]
	s_delay_alu instid0(VALU_DEP_4) | instskip(SKIP_3) | instid1(VALU_DEP_4)
	v_add_f64_e32 v[22:23], v[26:27], v[1:2]
	v_add_f64_e32 v[28:29], v[36:37], v[1:2]
	;; [unrolled: 1-line block ×3, first 2 shown]
	v_add_f64_e64 v[160:161], v[20:21], -v[12:13]
	v_add_f64_e64 v[142:143], v[22:23], -v[6:7]
	s_delay_alu instid0(VALU_DEP_4) | instskip(NEXT) | instid1(VALU_DEP_4)
	v_add_f64_e32 v[150:151], v[24:25], v[28:29]
	v_add_f64_e32 v[162:163], v[10:11], v[26:27]
	s_and_saveexec_b32 s0, vcc_lo
	s_cbranch_execz .LBB0_5
; %bb.4:
	v_add_f64_e64 v[32:33], v[26:27], -v[10:11]
	v_add_f64_e32 v[30:31], v[12:13], v[20:21]
	v_add_f64_e64 v[28:29], v[28:29], -v[24:25]
	v_add_f64_e32 v[26:27], v[16:17], v[18:19]
	v_add_f64_e32 v[10:11], v[6:7], v[22:23]
	v_add_f64_e64 v[8:9], v[14:15], -v[8:9]
	ds_store_b128 v71, v[248:251] offset:3584
	ds_store_b128 v0, v[30:33] offset:8192
	;; [unrolled: 1-line block ×7, first 2 shown]
.LBB0_5:
	s_wait_alu 0xfffe
	s_or_b32 exec_lo, exec_lo, s0
	global_wb scope:SCOPE_SE
	s_wait_storecnt_dscnt 0x0
	s_barrier_signal -1
	s_barrier_wait -1
	global_inv scope:SCOPE_SE
	global_load_b128 v[248:251], v[4:5], off offset:32256
	ds_load_b128 v[4:7], v71
	ds_load_b128 v[8:11], v71 offset:1792
	v_lshlrev_b32_e32 v3, 4, v70
	s_add_nc_u64 s[0:1], s[8:9], 0x7e00
	s_mov_b32 s9, 0x3febb67a
	s_wait_loadcnt_dscnt 0x1
	v_mul_f64_e32 v[12:13], v[4:5], v[250:251]
	v_mul_f64_e32 v[1:2], v[6:7], v[250:251]
	s_delay_alu instid0(VALU_DEP_2)
	v_fma_f64 v[6:7], v[6:7], v[248:249], v[12:13]
	global_load_b128 v[12:15], v3, s[0:1] offset:16128
	ds_load_b128 v[16:19], v71 offset:16128
	ds_load_b128 v[20:23], v71 offset:14336
	v_fma_f64 v[4:5], v[4:5], v[248:249], -v[1:2]
	global_load_b128 v[24:27], v3, s[0:1] offset:17920
	s_wait_loadcnt_dscnt 0x101
	v_mul_f64_e32 v[1:2], v[18:19], v[14:15]
	v_mul_f64_e32 v[28:29], v[16:17], v[14:15]
	s_delay_alu instid0(VALU_DEP_2) | instskip(NEXT) | instid1(VALU_DEP_2)
	v_fma_f64 v[14:15], v[16:17], v[12:13], -v[1:2]
	v_fma_f64 v[16:17], v[18:19], v[12:13], v[28:29]
	s_clause 0x1
	global_load_b128 v[28:31], v3, s[0:1] offset:1792
	global_load_b128 v[32:35], v3, s[0:1] offset:3584
	s_wait_loadcnt 0x1
	v_mul_f64_e32 v[1:2], v[10:11], v[30:31]
	v_mul_f64_e32 v[12:13], v[8:9], v[30:31]
	s_delay_alu instid0(VALU_DEP_2) | instskip(NEXT) | instid1(VALU_DEP_2)
	v_fma_f64 v[8:9], v[8:9], v[28:29], -v[1:2]
	v_fma_f64 v[10:11], v[10:11], v[28:29], v[12:13]
	ds_load_b128 v[28:31], v71 offset:17920
	ds_load_b128 v[36:39], v71 offset:19712
	ds_load_b128 v[40:43], v71 offset:3584
	ds_load_b128 v[44:47], v71 offset:5376
	s_wait_dscnt 0x3
	v_mul_f64_e32 v[1:2], v[30:31], v[26:27]
	v_mul_f64_e32 v[12:13], v[28:29], v[26:27]
	s_delay_alu instid0(VALU_DEP_2) | instskip(NEXT) | instid1(VALU_DEP_2)
	v_fma_f64 v[26:27], v[28:29], v[24:25], -v[1:2]
	v_fma_f64 v[28:29], v[30:31], v[24:25], v[12:13]
	s_wait_loadcnt_dscnt 0x1
	v_mul_f64_e32 v[1:2], v[42:43], v[34:35]
	v_mul_f64_e32 v[12:13], v[40:41], v[34:35]
	s_delay_alu instid0(VALU_DEP_2) | instskip(NEXT) | instid1(VALU_DEP_2)
	v_fma_f64 v[30:31], v[40:41], v[32:33], -v[1:2]
	v_fma_f64 v[32:33], v[42:43], v[32:33], v[12:13]
	s_clause 0x1
	global_load_b128 v[40:43], v3, s[0:1] offset:19712
	global_load_b128 v[48:51], v3, s[0:1] offset:21504
	s_wait_loadcnt 0x1
	v_mul_f64_e32 v[1:2], v[38:39], v[42:43]
	v_mul_f64_e32 v[12:13], v[36:37], v[42:43]
	s_delay_alu instid0(VALU_DEP_2) | instskip(NEXT) | instid1(VALU_DEP_2)
	v_fma_f64 v[34:35], v[36:37], v[40:41], -v[1:2]
	v_fma_f64 v[36:37], v[38:39], v[40:41], v[12:13]
	s_clause 0x1
	global_load_b128 v[38:41], v3, s[0:1] offset:5376
	global_load_b128 v[52:55], v3, s[0:1] offset:7168
	s_wait_loadcnt_dscnt 0x100
	v_mul_f64_e32 v[1:2], v[46:47], v[40:41]
	v_mul_f64_e32 v[12:13], v[44:45], v[40:41]
	s_delay_alu instid0(VALU_DEP_2) | instskip(NEXT) | instid1(VALU_DEP_2)
	v_fma_f64 v[40:41], v[44:45], v[38:39], -v[1:2]
	v_fma_f64 v[42:43], v[46:47], v[38:39], v[12:13]
	ds_load_b128 v[44:47], v71 offset:21504
	ds_load_b128 v[56:59], v71 offset:23296
	s_wait_dscnt 0x1
	v_mul_f64_e32 v[1:2], v[46:47], v[50:51]
	v_mul_f64_e32 v[12:13], v[44:45], v[50:51]
	s_delay_alu instid0(VALU_DEP_2) | instskip(NEXT) | instid1(VALU_DEP_2)
	v_fma_f64 v[44:45], v[44:45], v[48:49], -v[1:2]
	v_fma_f64 v[46:47], v[46:47], v[48:49], v[12:13]
	ds_load_b128 v[48:51], v71 offset:7168
	ds_load_b128 v[60:63], v71 offset:8960
	s_wait_loadcnt_dscnt 0x1
	v_mul_f64_e32 v[1:2], v[50:51], v[54:55]
	v_mul_f64_e32 v[12:13], v[48:49], v[54:55]
	s_delay_alu instid0(VALU_DEP_2) | instskip(NEXT) | instid1(VALU_DEP_2)
	v_fma_f64 v[48:49], v[48:49], v[52:53], -v[1:2]
	v_fma_f64 v[50:51], v[50:51], v[52:53], v[12:13]
	s_clause 0x3
	global_load_b128 v[52:55], v3, s[0:1] offset:23296
	global_load_b128 v[64:67], v3, s[0:1] offset:25088
	;; [unrolled: 1-line block ×4, first 2 shown]
	s_wait_loadcnt 0x3
	v_mul_f64_e32 v[1:2], v[58:59], v[54:55]
	v_mul_f64_e32 v[12:13], v[56:57], v[54:55]
	s_delay_alu instid0(VALU_DEP_2) | instskip(NEXT) | instid1(VALU_DEP_2)
	v_fma_f64 v[54:55], v[56:57], v[52:53], -v[1:2]
	v_fma_f64 v[56:57], v[58:59], v[52:53], v[12:13]
	s_wait_loadcnt_dscnt 0x100
	v_mul_f64_e32 v[1:2], v[62:63], v[130:131]
	v_mul_f64_e32 v[12:13], v[60:61], v[130:131]
	s_delay_alu instid0(VALU_DEP_2) | instskip(NEXT) | instid1(VALU_DEP_2)
	v_fma_f64 v[58:59], v[60:61], v[128:129], -v[1:2]
	v_fma_f64 v[60:61], v[62:63], v[128:129], v[12:13]
	ds_load_b128 v[128:131], v71 offset:25088
	ds_load_b128 v[252:255], v71 offset:26880
	s_wait_dscnt 0x1
	v_mul_f64_e32 v[1:2], v[130:131], v[66:67]
	v_mul_f64_e32 v[12:13], v[128:129], v[66:67]
	s_delay_alu instid0(VALU_DEP_2) | instskip(NEXT) | instid1(VALU_DEP_2)
	v_fma_f64 v[62:63], v[128:129], v[64:65], -v[1:2]
	v_fma_f64 v[64:65], v[130:131], v[64:65], v[12:13]
	ds_load_b128 v[66:69], v71 offset:10752
	ds_load_b128 v[128:131], v71 offset:12544
	s_wait_loadcnt_dscnt 0x1
	v_mul_f64_e32 v[1:2], v[68:69], v[250:251]
	v_mul_f64_e32 v[12:13], v[66:67], v[250:251]
	s_delay_alu instid0(VALU_DEP_2) | instskip(NEXT) | instid1(VALU_DEP_2)
	v_fma_f64 v[66:67], v[66:67], v[248:249], -v[1:2]
	v_fma_f64 v[68:69], v[68:69], v[248:249], v[12:13]
	s_clause 0x3
	global_load_b128 v[248:251], v3, s[0:1] offset:26880
	global_load_b128 v[236:239], v3, s[0:1] offset:28672
	;; [unrolled: 1-line block ×4, first 2 shown]
	s_wait_loadcnt 0x3
	v_mul_f64_e32 v[1:2], v[254:255], v[250:251]
	v_mul_f64_e32 v[12:13], v[252:253], v[250:251]
	s_delay_alu instid0(VALU_DEP_2) | instskip(NEXT) | instid1(VALU_DEP_2)
	v_fma_f64 v[250:251], v[252:253], v[248:249], -v[1:2]
	v_fma_f64 v[252:253], v[254:255], v[248:249], v[12:13]
	s_wait_loadcnt_dscnt 0x100
	v_mul_f64_e32 v[1:2], v[130:131], v[242:243]
	v_mul_f64_e32 v[12:13], v[128:129], v[242:243]
	s_delay_alu instid0(VALU_DEP_2) | instskip(NEXT) | instid1(VALU_DEP_2)
	v_fma_f64 v[128:129], v[128:129], v[240:241], -v[1:2]
	v_fma_f64 v[130:131], v[130:131], v[240:241], v[12:13]
	ds_load_b128 v[240:243], v71 offset:28672
	ds_load_b128 v[132:135], v71 offset:30464
	s_wait_dscnt 0x1
	v_mul_f64_e32 v[1:2], v[242:243], v[238:239]
	v_mul_f64_e32 v[12:13], v[240:241], v[238:239]
	s_delay_alu instid0(VALU_DEP_2) | instskip(NEXT) | instid1(VALU_DEP_2)
	v_fma_f64 v[238:239], v[240:241], v[236:237], -v[1:2]
	v_fma_f64 v[240:241], v[242:243], v[236:237], v[12:13]
	s_wait_loadcnt 0x0
	v_mul_f64_e32 v[1:2], v[22:23], v[246:247]
	v_mul_f64_e32 v[12:13], v[20:21], v[246:247]
	s_delay_alu instid0(VALU_DEP_2) | instskip(NEXT) | instid1(VALU_DEP_2)
	v_fma_f64 v[18:19], v[20:21], v[244:245], -v[1:2]
	v_fma_f64 v[20:21], v[22:23], v[244:245], v[12:13]
	global_load_b128 v[22:25], v3, s[0:1] offset:30464
	s_mov_b32 s0, 0xe8584caa
	s_mov_b32 s1, 0xbfebb67a
	s_wait_alu 0xfffe
	s_mov_b32 s8, s0
	s_wait_loadcnt_dscnt 0x0
	v_mul_f64_e32 v[1:2], v[134:135], v[24:25]
	v_mul_f64_e32 v[12:13], v[132:133], v[24:25]
	s_delay_alu instid0(VALU_DEP_2) | instskip(NEXT) | instid1(VALU_DEP_2)
	v_fma_f64 v[132:133], v[132:133], v[22:23], -v[1:2]
	v_fma_f64 v[134:135], v[134:135], v[22:23], v[12:13]
	ds_store_b128 v71, v[4:7]
	ds_store_b128 v71, v[8:11] offset:1792
	ds_store_b128 v71, v[26:29] offset:17920
	ds_store_b128 v71, v[34:37] offset:19712
	ds_store_b128 v71, v[30:33] offset:3584
	ds_store_b128 v71, v[40:43] offset:5376
	ds_store_b128 v71, v[44:47] offset:21504
	ds_store_b128 v71, v[54:57] offset:23296
	ds_store_b128 v71, v[48:51] offset:7168
	ds_store_b128 v71, v[58:61] offset:8960
	ds_store_b128 v71, v[62:65] offset:25088
	ds_store_b128 v71, v[250:253] offset:26880
	ds_store_b128 v71, v[66:69] offset:10752
	ds_store_b128 v71, v[128:131] offset:12544
	ds_store_b128 v71, v[14:17] offset:16128
	ds_store_b128 v71, v[18:21] offset:14336
	ds_store_b128 v71, v[238:241] offset:28672
	ds_store_b128 v71, v[132:135] offset:30464
	global_wb scope:SCOPE_SE
	s_wait_dscnt 0x0
	s_barrier_signal -1
	s_barrier_wait -1
	global_inv scope:SCOPE_SE
	ds_load_b128 v[4:7], v71 offset:16128
	ds_load_b128 v[8:11], v71
	ds_load_b128 v[12:15], v71 offset:1792
	ds_load_b128 v[16:19], v71 offset:14336
	;; [unrolled: 1-line block ×16, first 2 shown]
	global_wb scope:SCOPE_SE
	s_wait_dscnt 0x0
	s_barrier_signal -1
	s_barrier_wait -1
	global_inv scope:SCOPE_SE
	scratch_load_b32 v1, off, off offset:336 th:TH_LOAD_LU ; 4-byte Folded Reload
	v_add_f64_e64 v[4:5], v[8:9], -v[4:5]
	v_add_f64_e64 v[6:7], v[10:11], -v[6:7]
	s_delay_alu instid0(VALU_DEP_2) | instskip(NEXT) | instid1(VALU_DEP_2)
	v_fma_f64 v[8:9], v[8:9], 2.0, -v[4:5]
	v_fma_f64 v[10:11], v[10:11], 2.0, -v[6:7]
	s_wait_loadcnt 0x0
	ds_store_b128 v1, v[4:7] offset:16
	ds_store_b128 v1, v[8:11]
	scratch_load_b32 v1, off, off offset:332 th:TH_LOAD_LU ; 4-byte Folded Reload
	v_add_f64_e64 v[4:5], v[12:13], -v[20:21]
	v_add_f64_e64 v[6:7], v[14:15], -v[22:23]
	s_delay_alu instid0(VALU_DEP_2) | instskip(NEXT) | instid1(VALU_DEP_2)
	v_fma_f64 v[8:9], v[12:13], 2.0, -v[4:5]
	v_fma_f64 v[10:11], v[14:15], 2.0, -v[6:7]
	s_wait_loadcnt 0x0
	ds_store_b128 v1, v[8:11]
	ds_store_b128 v1, v[4:7] offset:16
	scratch_load_b32 v1, off, off offset:328 th:TH_LOAD_LU ; 4-byte Folded Reload
	v_add_f64_e64 v[4:5], v[28:29], -v[24:25]
	v_add_f64_e64 v[6:7], v[30:31], -v[26:27]
	s_delay_alu instid0(VALU_DEP_2) | instskip(NEXT) | instid1(VALU_DEP_2)
	v_fma_f64 v[8:9], v[28:29], 2.0, -v[4:5]
	v_fma_f64 v[10:11], v[30:31], 2.0, -v[6:7]
	s_wait_loadcnt 0x0
	ds_store_b128 v1, v[8:11]
	ds_store_b128 v1, v[4:7] offset:16
	scratch_load_b32 v1, off, off offset:324 th:TH_LOAD_LU ; 4-byte Folded Reload
	v_add_f64_e64 v[4:5], v[32:33], -v[36:37]
	v_add_f64_e64 v[6:7], v[34:35], -v[38:39]
	s_delay_alu instid0(VALU_DEP_2) | instskip(NEXT) | instid1(VALU_DEP_2)
	v_fma_f64 v[8:9], v[32:33], 2.0, -v[4:5]
	v_fma_f64 v[10:11], v[34:35], 2.0, -v[6:7]
	s_wait_loadcnt 0x0
	ds_store_b128 v1, v[8:11]
	ds_store_b128 v1, v[4:7] offset:16
	scratch_load_b32 v1, off, off offset:320 th:TH_LOAD_LU ; 4-byte Folded Reload
	v_add_f64_e64 v[4:5], v[44:45], -v[40:41]
	v_add_f64_e64 v[6:7], v[46:47], -v[42:43]
	s_delay_alu instid0(VALU_DEP_2) | instskip(NEXT) | instid1(VALU_DEP_2)
	v_fma_f64 v[8:9], v[44:45], 2.0, -v[4:5]
	v_fma_f64 v[10:11], v[46:47], 2.0, -v[6:7]
	s_wait_loadcnt 0x0
	ds_store_b128 v1, v[8:11]
	ds_store_b128 v1, v[4:7] offset:16
	scratch_load_b32 v1, off, off offset:316 th:TH_LOAD_LU ; 4-byte Folded Reload
	v_add_f64_e64 v[4:5], v[48:49], -v[52:53]
	v_add_f64_e64 v[6:7], v[50:51], -v[54:55]
	s_delay_alu instid0(VALU_DEP_2) | instskip(NEXT) | instid1(VALU_DEP_2)
	v_fma_f64 v[8:9], v[48:49], 2.0, -v[4:5]
	v_fma_f64 v[10:11], v[50:51], 2.0, -v[6:7]
	s_wait_loadcnt 0x0
	ds_store_b128 v1, v[8:11]
	ds_store_b128 v1, v[4:7] offset:16
	scratch_load_b32 v1, off, off offset:312 th:TH_LOAD_LU ; 4-byte Folded Reload
	v_add_f64_e64 v[4:5], v[60:61], -v[56:57]
	v_add_f64_e64 v[6:7], v[62:63], -v[58:59]
	s_delay_alu instid0(VALU_DEP_2) | instskip(NEXT) | instid1(VALU_DEP_2)
	v_fma_f64 v[8:9], v[60:61], 2.0, -v[4:5]
	v_fma_f64 v[10:11], v[62:63], 2.0, -v[6:7]
	s_wait_loadcnt 0x0
	ds_store_b128 v1, v[8:11]
	ds_store_b128 v1, v[4:7] offset:16
	scratch_load_b32 v1, off, off offset:308 th:TH_LOAD_LU ; 4-byte Folded Reload
	v_add_f64_e64 v[4:5], v[64:65], -v[128:129]
	v_add_f64_e64 v[6:7], v[66:67], -v[130:131]
	s_delay_alu instid0(VALU_DEP_2) | instskip(NEXT) | instid1(VALU_DEP_2)
	v_fma_f64 v[8:9], v[64:65], 2.0, -v[4:5]
	v_fma_f64 v[10:11], v[66:67], 2.0, -v[6:7]
	s_wait_loadcnt 0x0
	ds_store_b128 v1, v[8:11]
	ds_store_b128 v1, v[4:7] offset:16
	scratch_load_b32 v1, off, off offset:304 th:TH_LOAD_LU ; 4-byte Folded Reload
	v_add_f64_e64 v[4:5], v[16:17], -v[132:133]
	v_add_f64_e64 v[6:7], v[18:19], -v[134:135]
	s_delay_alu instid0(VALU_DEP_2) | instskip(NEXT) | instid1(VALU_DEP_2)
	v_fma_f64 v[8:9], v[16:17], 2.0, -v[4:5]
	v_fma_f64 v[10:11], v[18:19], 2.0, -v[6:7]
	s_wait_loadcnt 0x0
	ds_store_b128 v1, v[8:11]
	ds_store_b128 v1, v[4:7] offset:16
	global_wb scope:SCOPE_SE
	s_wait_dscnt 0x0
	s_barrier_signal -1
	s_barrier_wait -1
	global_inv scope:SCOPE_SE
	ds_load_b128 v[4:7], v71 offset:16128
	ds_load_b128 v[8:11], v71 offset:14336
	s_wait_dscnt 0x1
	v_mul_f64_e32 v[1:2], v[74:75], v[6:7]
	s_delay_alu instid0(VALU_DEP_1) | instskip(SKIP_1) | instid1(VALU_DEP_1)
	v_fma_f64 v[1:2], v[72:73], v[4:5], v[1:2]
	v_mul_f64_e32 v[3:4], v[74:75], v[4:5]
	v_fma_f64 v[18:19], v[72:73], v[6:7], -v[3:4]
	ds_load_b128 v[4:7], v71 offset:17920
	ds_load_b128 v[12:15], v71 offset:19712
	s_wait_dscnt 0x1
	v_mul_f64_e32 v[16:17], v[74:75], v[6:7]
	s_delay_alu instid0(VALU_DEP_1) | instskip(SKIP_1) | instid1(VALU_DEP_1)
	v_fma_f64 v[44:45], v[72:73], v[4:5], v[16:17]
	v_mul_f64_e32 v[3:4], v[74:75], v[4:5]
	v_fma_f64 v[46:47], v[72:73], v[6:7], -v[3:4]
	s_wait_dscnt 0x0
	v_mul_f64_e32 v[3:4], v[74:75], v[14:15]
	s_delay_alu instid0(VALU_DEP_1) | instskip(SKIP_1) | instid1(VALU_DEP_1)
	v_fma_f64 v[48:49], v[72:73], v[12:13], v[3:4]
	v_mul_f64_e32 v[3:4], v[74:75], v[12:13]
	v_fma_f64 v[50:51], v[72:73], v[14:15], -v[3:4]
	ds_load_b128 v[4:7], v71 offset:21504
	ds_load_b128 v[12:15], v71 offset:23296
	s_wait_dscnt 0x1
	v_mul_f64_e32 v[16:17], v[74:75], v[6:7]
	s_delay_alu instid0(VALU_DEP_1) | instskip(SKIP_1) | instid1(VALU_DEP_1)
	v_fma_f64 v[52:53], v[72:73], v[4:5], v[16:17]
	v_mul_f64_e32 v[3:4], v[74:75], v[4:5]
	v_fma_f64 v[54:55], v[72:73], v[6:7], -v[3:4]
	;; [unrolled: 14-line block ×4, first 2 shown]
	s_wait_dscnt 0x0
	v_mul_f64_e32 v[3:4], v[74:75], v[14:15]
	s_delay_alu instid0(VALU_DEP_1) | instskip(SKIP_1) | instid1(VALU_DEP_1)
	v_fma_f64 v[98:99], v[72:73], v[12:13], v[3:4]
	v_mul_f64_e32 v[3:4], v[74:75], v[12:13]
	v_fma_f64 v[72:73], v[72:73], v[14:15], -v[3:4]
	ds_load_b128 v[4:7], v71
	ds_load_b128 v[12:15], v71 offset:1792
	ds_load_b128 v[20:23], v71 offset:3584
	;; [unrolled: 1-line block ×7, first 2 shown]
	global_wb scope:SCOPE_SE
	s_wait_dscnt 0x0
	s_barrier_signal -1
	s_barrier_wait -1
	global_inv scope:SCOPE_SE
	v_add_f64_e64 v[16:17], v[4:5], -v[1:2]
	scratch_load_b32 v1, off, off offset:364 th:TH_LOAD_LU ; 4-byte Folded Reload
	v_add_f64_e64 v[18:19], v[6:7], -v[18:19]
	v_fma_f64 v[4:5], v[4:5], 2.0, -v[16:17]
	s_delay_alu instid0(VALU_DEP_2)
	v_fma_f64 v[6:7], v[6:7], 2.0, -v[18:19]
	s_wait_loadcnt 0x0
	ds_store_b128 v1, v[16:19] offset:32
	ds_store_b128 v1, v[4:7]
	scratch_load_b32 v1, off, off offset:372 th:TH_LOAD_LU ; 4-byte Folded Reload
	v_add_f64_e64 v[4:5], v[12:13], -v[44:45]
	v_add_f64_e64 v[6:7], v[14:15], -v[46:47]
	s_delay_alu instid0(VALU_DEP_2) | instskip(NEXT) | instid1(VALU_DEP_2)
	v_fma_f64 v[12:13], v[12:13], 2.0, -v[4:5]
	v_fma_f64 v[14:15], v[14:15], 2.0, -v[6:7]
	s_wait_loadcnt 0x0
	ds_store_b128 v1, v[12:15]
	ds_store_b128 v1, v[4:7] offset:32
	scratch_load_b32 v1, off, off offset:368 th:TH_LOAD_LU ; 4-byte Folded Reload
	v_add_f64_e64 v[4:5], v[20:21], -v[48:49]
	v_add_f64_e64 v[6:7], v[22:23], -v[50:51]
	s_delay_alu instid0(VALU_DEP_2) | instskip(NEXT) | instid1(VALU_DEP_2)
	v_fma_f64 v[12:13], v[20:21], 2.0, -v[4:5]
	v_fma_f64 v[14:15], v[22:23], 2.0, -v[6:7]
	s_wait_loadcnt 0x0
	ds_store_b128 v1, v[12:15]
	ds_store_b128 v1, v[4:7] offset:32
	;; [unrolled: 9-line block ×8, first 2 shown]
	global_wb scope:SCOPE_SE
	s_wait_dscnt 0x0
	s_barrier_signal -1
	s_barrier_wait -1
	global_inv scope:SCOPE_SE
	ds_load_b128 v[4:7], v71 offset:16128
	ds_load_b128 v[8:11], v71 offset:14336
	s_wait_dscnt 0x1
	v_mul_f64_e32 v[1:2], v[78:79], v[6:7]
	s_delay_alu instid0(VALU_DEP_1) | instskip(SKIP_1) | instid1(VALU_DEP_1)
	v_fma_f64 v[1:2], v[76:77], v[4:5], v[1:2]
	v_mul_f64_e32 v[3:4], v[78:79], v[4:5]
	v_fma_f64 v[18:19], v[76:77], v[6:7], -v[3:4]
	ds_load_b128 v[4:7], v71 offset:17920
	ds_load_b128 v[12:15], v71 offset:19712
	s_wait_dscnt 0x1
	v_mul_f64_e32 v[16:17], v[78:79], v[6:7]
	s_delay_alu instid0(VALU_DEP_1) | instskip(SKIP_1) | instid1(VALU_DEP_1)
	v_fma_f64 v[44:45], v[76:77], v[4:5], v[16:17]
	v_mul_f64_e32 v[3:4], v[78:79], v[4:5]
	v_fma_f64 v[46:47], v[76:77], v[6:7], -v[3:4]
	s_wait_dscnt 0x0
	v_mul_f64_e32 v[3:4], v[78:79], v[14:15]
	s_delay_alu instid0(VALU_DEP_1) | instskip(SKIP_1) | instid1(VALU_DEP_1)
	v_fma_f64 v[48:49], v[76:77], v[12:13], v[3:4]
	v_mul_f64_e32 v[3:4], v[78:79], v[12:13]
	v_fma_f64 v[50:51], v[76:77], v[14:15], -v[3:4]
	ds_load_b128 v[4:7], v71 offset:21504
	ds_load_b128 v[12:15], v71 offset:23296
	s_wait_dscnt 0x1
	v_mul_f64_e32 v[16:17], v[78:79], v[6:7]
	s_delay_alu instid0(VALU_DEP_1) | instskip(SKIP_1) | instid1(VALU_DEP_1)
	v_fma_f64 v[52:53], v[76:77], v[4:5], v[16:17]
	v_mul_f64_e32 v[3:4], v[78:79], v[4:5]
	v_fma_f64 v[54:55], v[76:77], v[6:7], -v[3:4]
	;; [unrolled: 14-line block ×4, first 2 shown]
	s_wait_dscnt 0x0
	v_mul_f64_e32 v[3:4], v[78:79], v[14:15]
	s_delay_alu instid0(VALU_DEP_1) | instskip(SKIP_1) | instid1(VALU_DEP_1)
	v_fma_f64 v[74:75], v[76:77], v[12:13], v[3:4]
	v_mul_f64_e32 v[3:4], v[78:79], v[12:13]
	v_fma_f64 v[76:77], v[76:77], v[14:15], -v[3:4]
	ds_load_b128 v[4:7], v71
	ds_load_b128 v[12:15], v71 offset:1792
	ds_load_b128 v[20:23], v71 offset:3584
	;; [unrolled: 1-line block ×7, first 2 shown]
	global_wb scope:SCOPE_SE
	s_wait_dscnt 0x0
	s_barrier_signal -1
	s_barrier_wait -1
	global_inv scope:SCOPE_SE
	v_add_f64_e64 v[16:17], v[4:5], -v[1:2]
	scratch_load_b32 v1, off, off offset:400 th:TH_LOAD_LU ; 4-byte Folded Reload
	v_add_f64_e64 v[18:19], v[6:7], -v[18:19]
	v_fma_f64 v[4:5], v[4:5], 2.0, -v[16:17]
	s_delay_alu instid0(VALU_DEP_2)
	v_fma_f64 v[6:7], v[6:7], 2.0, -v[18:19]
	s_wait_loadcnt 0x0
	ds_store_b128 v1, v[16:19] offset:64
	ds_store_b128 v1, v[4:7]
	scratch_load_b32 v1, off, off offset:408 th:TH_LOAD_LU ; 4-byte Folded Reload
	v_add_f64_e64 v[4:5], v[12:13], -v[44:45]
	v_add_f64_e64 v[6:7], v[14:15], -v[46:47]
	s_delay_alu instid0(VALU_DEP_2) | instskip(NEXT) | instid1(VALU_DEP_2)
	v_fma_f64 v[12:13], v[12:13], 2.0, -v[4:5]
	v_fma_f64 v[14:15], v[14:15], 2.0, -v[6:7]
	s_wait_loadcnt 0x0
	ds_store_b128 v1, v[12:15]
	ds_store_b128 v1, v[4:7] offset:64
	scratch_load_b32 v1, off, off offset:404 th:TH_LOAD_LU ; 4-byte Folded Reload
	v_add_f64_e64 v[4:5], v[20:21], -v[48:49]
	v_add_f64_e64 v[6:7], v[22:23], -v[50:51]
	s_delay_alu instid0(VALU_DEP_2) | instskip(NEXT) | instid1(VALU_DEP_2)
	v_fma_f64 v[12:13], v[20:21], 2.0, -v[4:5]
	v_fma_f64 v[14:15], v[22:23], 2.0, -v[6:7]
	s_wait_loadcnt 0x0
	ds_store_b128 v1, v[12:15]
	ds_store_b128 v1, v[4:7] offset:64
	;; [unrolled: 9-line block ×8, first 2 shown]
	global_wb scope:SCOPE_SE
	s_wait_dscnt 0x0
	s_barrier_signal -1
	s_barrier_wait -1
	global_inv scope:SCOPE_SE
	ds_load_b128 v[4:7], v71 offset:16128
	ds_load_b128 v[8:11], v71 offset:14336
	s_wait_dscnt 0x1
	v_mul_f64_e32 v[1:2], v[82:83], v[6:7]
	s_delay_alu instid0(VALU_DEP_1) | instskip(SKIP_1) | instid1(VALU_DEP_1)
	v_fma_f64 v[1:2], v[80:81], v[4:5], v[1:2]
	v_mul_f64_e32 v[3:4], v[82:83], v[4:5]
	v_fma_f64 v[18:19], v[80:81], v[6:7], -v[3:4]
	ds_load_b128 v[4:7], v71 offset:17920
	ds_load_b128 v[12:15], v71 offset:19712
	s_wait_dscnt 0x1
	v_mul_f64_e32 v[16:17], v[82:83], v[6:7]
	s_delay_alu instid0(VALU_DEP_1) | instskip(SKIP_1) | instid1(VALU_DEP_1)
	v_fma_f64 v[44:45], v[80:81], v[4:5], v[16:17]
	v_mul_f64_e32 v[3:4], v[82:83], v[4:5]
	v_fma_f64 v[46:47], v[80:81], v[6:7], -v[3:4]
	s_wait_dscnt 0x0
	v_mul_f64_e32 v[3:4], v[82:83], v[14:15]
	s_delay_alu instid0(VALU_DEP_1) | instskip(SKIP_1) | instid1(VALU_DEP_1)
	v_fma_f64 v[48:49], v[80:81], v[12:13], v[3:4]
	v_mul_f64_e32 v[3:4], v[82:83], v[12:13]
	v_fma_f64 v[50:51], v[80:81], v[14:15], -v[3:4]
	ds_load_b128 v[4:7], v71 offset:21504
	ds_load_b128 v[12:15], v71 offset:23296
	s_wait_dscnt 0x1
	v_mul_f64_e32 v[16:17], v[82:83], v[6:7]
	s_delay_alu instid0(VALU_DEP_1) | instskip(SKIP_1) | instid1(VALU_DEP_1)
	v_fma_f64 v[52:53], v[80:81], v[4:5], v[16:17]
	v_mul_f64_e32 v[3:4], v[82:83], v[4:5]
	v_fma_f64 v[54:55], v[80:81], v[6:7], -v[3:4]
	;; [unrolled: 14-line block ×4, first 2 shown]
	s_wait_dscnt 0x0
	v_mul_f64_e32 v[3:4], v[82:83], v[14:15]
	s_delay_alu instid0(VALU_DEP_1) | instskip(SKIP_1) | instid1(VALU_DEP_1)
	v_fma_f64 v[74:75], v[80:81], v[12:13], v[3:4]
	v_mul_f64_e32 v[3:4], v[82:83], v[12:13]
	v_fma_f64 v[76:77], v[80:81], v[14:15], -v[3:4]
	ds_load_b128 v[4:7], v71
	ds_load_b128 v[12:15], v71 offset:1792
	ds_load_b128 v[20:23], v71 offset:3584
	;; [unrolled: 1-line block ×7, first 2 shown]
	global_wb scope:SCOPE_SE
	s_wait_dscnt 0x0
	s_barrier_signal -1
	s_barrier_wait -1
	global_inv scope:SCOPE_SE
	v_add_f64_e64 v[16:17], v[4:5], -v[1:2]
	scratch_load_b32 v1, off, off offset:492 th:TH_LOAD_LU ; 4-byte Folded Reload
	v_add_f64_e64 v[18:19], v[6:7], -v[18:19]
	v_fma_f64 v[4:5], v[4:5], 2.0, -v[16:17]
	s_delay_alu instid0(VALU_DEP_2)
	v_fma_f64 v[6:7], v[6:7], 2.0, -v[18:19]
	s_wait_loadcnt 0x0
	ds_store_b128 v1, v[16:19] offset:128
	ds_store_b128 v1, v[4:7]
	scratch_load_b32 v1, off, off offset:500 th:TH_LOAD_LU ; 4-byte Folded Reload
	v_add_f64_e64 v[4:5], v[12:13], -v[44:45]
	v_add_f64_e64 v[6:7], v[14:15], -v[46:47]
	s_delay_alu instid0(VALU_DEP_2) | instskip(NEXT) | instid1(VALU_DEP_2)
	v_fma_f64 v[12:13], v[12:13], 2.0, -v[4:5]
	v_fma_f64 v[14:15], v[14:15], 2.0, -v[6:7]
	s_wait_loadcnt 0x0
	ds_store_b128 v1, v[12:15]
	ds_store_b128 v1, v[4:7] offset:128
	scratch_load_b32 v1, off, off offset:496 th:TH_LOAD_LU ; 4-byte Folded Reload
	v_add_f64_e64 v[4:5], v[20:21], -v[48:49]
	v_add_f64_e64 v[6:7], v[22:23], -v[50:51]
	s_delay_alu instid0(VALU_DEP_2) | instskip(NEXT) | instid1(VALU_DEP_2)
	v_fma_f64 v[12:13], v[20:21], 2.0, -v[4:5]
	v_fma_f64 v[14:15], v[22:23], 2.0, -v[6:7]
	s_wait_loadcnt 0x0
	ds_store_b128 v1, v[12:15]
	ds_store_b128 v1, v[4:7] offset:128
	;; [unrolled: 9-line block ×8, first 2 shown]
	global_wb scope:SCOPE_SE
	s_wait_dscnt 0x0
	s_barrier_signal -1
	s_barrier_wait -1
	global_inv scope:SCOPE_SE
	ds_load_b128 v[4:7], v71 offset:16128
	ds_load_b128 v[8:11], v71 offset:14336
	s_wait_dscnt 0x1
	v_mul_f64_e32 v[1:2], v[86:87], v[6:7]
	s_delay_alu instid0(VALU_DEP_1) | instskip(SKIP_1) | instid1(VALU_DEP_1)
	v_fma_f64 v[1:2], v[84:85], v[4:5], v[1:2]
	v_mul_f64_e32 v[3:4], v[86:87], v[4:5]
	v_fma_f64 v[18:19], v[84:85], v[6:7], -v[3:4]
	ds_load_b128 v[4:7], v71 offset:17920
	ds_load_b128 v[12:15], v71 offset:19712
	s_wait_dscnt 0x1
	v_mul_f64_e32 v[16:17], v[86:87], v[6:7]
	s_delay_alu instid0(VALU_DEP_1) | instskip(SKIP_1) | instid1(VALU_DEP_1)
	v_fma_f64 v[44:45], v[84:85], v[4:5], v[16:17]
	v_mul_f64_e32 v[3:4], v[86:87], v[4:5]
	v_fma_f64 v[46:47], v[84:85], v[6:7], -v[3:4]
	s_wait_dscnt 0x0
	v_mul_f64_e32 v[3:4], v[86:87], v[14:15]
	s_delay_alu instid0(VALU_DEP_1) | instskip(SKIP_1) | instid1(VALU_DEP_1)
	v_fma_f64 v[48:49], v[84:85], v[12:13], v[3:4]
	v_mul_f64_e32 v[3:4], v[86:87], v[12:13]
	v_fma_f64 v[50:51], v[84:85], v[14:15], -v[3:4]
	ds_load_b128 v[4:7], v71 offset:21504
	ds_load_b128 v[12:15], v71 offset:23296
	s_wait_dscnt 0x1
	v_mul_f64_e32 v[16:17], v[86:87], v[6:7]
	s_delay_alu instid0(VALU_DEP_1) | instskip(SKIP_1) | instid1(VALU_DEP_1)
	v_fma_f64 v[52:53], v[84:85], v[4:5], v[16:17]
	v_mul_f64_e32 v[3:4], v[86:87], v[4:5]
	v_fma_f64 v[54:55], v[84:85], v[6:7], -v[3:4]
	;; [unrolled: 14-line block ×4, first 2 shown]
	s_wait_dscnt 0x0
	v_mul_f64_e32 v[3:4], v[86:87], v[14:15]
	s_delay_alu instid0(VALU_DEP_1) | instskip(SKIP_1) | instid1(VALU_DEP_1)
	v_fma_f64 v[74:75], v[84:85], v[12:13], v[3:4]
	v_mul_f64_e32 v[3:4], v[86:87], v[12:13]
	v_fma_f64 v[76:77], v[84:85], v[14:15], -v[3:4]
	ds_load_b128 v[4:7], v71
	ds_load_b128 v[12:15], v71 offset:1792
	ds_load_b128 v[20:23], v71 offset:3584
	;; [unrolled: 1-line block ×7, first 2 shown]
	global_wb scope:SCOPE_SE
	s_wait_dscnt 0x0
	s_barrier_signal -1
	s_barrier_wait -1
	global_inv scope:SCOPE_SE
	v_add_f64_e64 v[16:17], v[4:5], -v[1:2]
	scratch_load_b32 v1, off, off offset:572 th:TH_LOAD_LU ; 4-byte Folded Reload
	v_add_f64_e64 v[18:19], v[6:7], -v[18:19]
	v_fma_f64 v[4:5], v[4:5], 2.0, -v[16:17]
	s_delay_alu instid0(VALU_DEP_2)
	v_fma_f64 v[6:7], v[6:7], 2.0, -v[18:19]
	s_wait_loadcnt 0x0
	ds_store_b128 v1, v[16:19] offset:256
	ds_store_b128 v1, v[4:7]
	scratch_load_b32 v1, off, off offset:580 th:TH_LOAD_LU ; 4-byte Folded Reload
	v_add_f64_e64 v[4:5], v[12:13], -v[44:45]
	v_add_f64_e64 v[6:7], v[14:15], -v[46:47]
	s_delay_alu instid0(VALU_DEP_2) | instskip(NEXT) | instid1(VALU_DEP_2)
	v_fma_f64 v[12:13], v[12:13], 2.0, -v[4:5]
	v_fma_f64 v[14:15], v[14:15], 2.0, -v[6:7]
	s_wait_loadcnt 0x0
	ds_store_b128 v1, v[12:15]
	ds_store_b128 v1, v[4:7] offset:256
	scratch_load_b32 v1, off, off offset:576 th:TH_LOAD_LU ; 4-byte Folded Reload
	v_add_f64_e64 v[4:5], v[20:21], -v[48:49]
	v_add_f64_e64 v[6:7], v[22:23], -v[50:51]
	s_delay_alu instid0(VALU_DEP_2) | instskip(NEXT) | instid1(VALU_DEP_2)
	v_fma_f64 v[12:13], v[20:21], 2.0, -v[4:5]
	v_fma_f64 v[14:15], v[22:23], 2.0, -v[6:7]
	s_wait_loadcnt 0x0
	ds_store_b128 v1, v[12:15]
	ds_store_b128 v1, v[4:7] offset:256
	;; [unrolled: 9-line block ×8, first 2 shown]
	global_wb scope:SCOPE_SE
	s_wait_dscnt 0x0
	s_barrier_signal -1
	s_barrier_wait -1
	global_inv scope:SCOPE_SE
	ds_load_b128 v[4:7], v71 offset:16128
	ds_load_b128 v[8:11], v71 offset:14336
	s_wait_dscnt 0x1
	v_mul_f64_e32 v[1:2], v[126:127], v[6:7]
	s_delay_alu instid0(VALU_DEP_1) | instskip(SKIP_1) | instid1(VALU_DEP_1)
	v_fma_f64 v[34:35], v[124:125], v[4:5], v[1:2]
	v_mul_f64_e32 v[1:2], v[126:127], v[4:5]
	v_fma_f64 v[36:37], v[124:125], v[6:7], -v[1:2]
	ds_load_b128 v[4:7], v71 offset:26880
	ds_load_b128 v[12:15], v71 offset:25088
	scratch_load_b128 v[16:19], off, off offset:540 th:TH_LOAD_LU ; 16-byte Folded Reload
	s_wait_loadcnt_dscnt 0x1
	v_mul_f64_e32 v[1:2], v[18:19], v[6:7]
	s_delay_alu instid0(VALU_DEP_1) | instskip(SKIP_1) | instid1(VALU_DEP_1)
	v_fma_f64 v[38:39], v[16:17], v[4:5], v[1:2]
	v_mul_f64_e32 v[1:2], v[18:19], v[4:5]
	v_fma_f64 v[40:41], v[16:17], v[6:7], -v[1:2]
	ds_load_b128 v[4:7], v71 offset:10752
	ds_load_b128 v[16:19], v71 offset:12544
	s_wait_dscnt 0x1
	v_mul_f64_e32 v[1:2], v[90:91], v[6:7]
	s_delay_alu instid0(VALU_DEP_1) | instskip(SKIP_1) | instid1(VALU_DEP_1)
	v_fma_f64 v[24:25], v[88:89], v[4:5], v[1:2]
	v_mul_f64_e32 v[1:2], v[90:91], v[4:5]
	v_fma_f64 v[26:27], v[88:89], v[6:7], -v[1:2]
	v_mul_f64_e32 v[1:2], v[90:91], v[10:11]
	s_delay_alu instid0(VALU_DEP_1) | instskip(SKIP_1) | instid1(VALU_DEP_1)
	v_fma_f64 v[42:43], v[88:89], v[8:9], v[1:2]
	v_mul_f64_e32 v[1:2], v[90:91], v[8:9]
	v_fma_f64 v[44:45], v[88:89], v[10:11], -v[1:2]
	ds_load_b128 v[4:7], v71 offset:17920
	ds_load_b128 v[8:11], v71 offset:19712
	s_wait_dscnt 0x1
	v_mul_f64_e32 v[1:2], v[90:91], v[6:7]
	s_delay_alu instid0(VALU_DEP_1) | instskip(SKIP_1) | instid1(VALU_DEP_1)
	v_fma_f64 v[46:47], v[88:89], v[4:5], v[1:2]
	v_mul_f64_e32 v[1:2], v[90:91], v[4:5]
	v_fma_f64 v[48:49], v[88:89], v[6:7], -v[1:2]
	ds_load_b128 v[4:7], v71 offset:21504
	ds_load_b128 v[20:23], v71 offset:23296
	s_wait_dscnt 0x1
	v_mul_f64_e32 v[1:2], v[94:95], v[6:7]
	s_delay_alu instid0(VALU_DEP_1) | instskip(SKIP_1) | instid1(VALU_DEP_1)
	v_fma_f64 v[28:29], v[92:93], v[4:5], v[1:2]
	v_mul_f64_e32 v[1:2], v[94:95], v[4:5]
	v_fma_f64 v[30:31], v[92:93], v[6:7], -v[1:2]
	v_mul_f64_e32 v[1:2], v[94:95], v[14:15]
	s_delay_alu instid0(VALU_DEP_1) | instskip(SKIP_1) | instid1(VALU_DEP_1)
	v_fma_f64 v[50:51], v[92:93], v[12:13], v[1:2]
	v_mul_f64_e32 v[1:2], v[94:95], v[12:13]
	v_fma_f64 v[52:53], v[92:93], v[14:15], -v[1:2]
	ds_load_b128 v[4:7], v71 offset:28672
	ds_load_b128 v[12:15], v71 offset:30464
	scratch_load_b128 v[60:63], off, off offset:452 th:TH_LOAD_LU ; 16-byte Folded Reload
	s_wait_dscnt 0x1
	v_mul_f64_e32 v[1:2], v[94:95], v[6:7]
	s_delay_alu instid0(VALU_DEP_1)
	v_fma_f64 v[54:55], v[92:93], v[4:5], v[1:2]
	v_mul_f64_e32 v[1:2], v[94:95], v[4:5]
	scratch_load_b64 v[3:4], off, off offset:508 th:TH_LOAD_LU ; 8-byte Folded Reload
	v_fma_f64 v[56:57], v[92:93], v[6:7], -v[1:2]
	scratch_load_b64 v[5:6], off, off offset:412 th:TH_LOAD_LU ; 8-byte Folded Reload
	s_wait_loadcnt_dscnt 0x100
	v_mul_f64_e32 v[1:2], v[3:4], v[14:15]
	v_mul_f64_e32 v[3:4], v[3:4], v[12:13]
	s_delay_alu instid0(VALU_DEP_2) | instskip(NEXT) | instid1(VALU_DEP_2)
	v_fma_f64 v[58:59], v[60:61], v[12:13], v[1:2]
	v_fma_f64 v[60:61], v[60:61], v[14:15], -v[3:4]
	scratch_load_b128 v[12:15], off, off offset:436 th:TH_LOAD_LU ; 16-byte Folded Reload
	v_mul_f64_e32 v[1:2], v[62:63], v[22:23]
	v_mul_f64_e32 v[3:4], v[62:63], v[20:21]
	s_wait_loadcnt 0x0
	s_delay_alu instid0(VALU_DEP_2) | instskip(NEXT) | instid1(VALU_DEP_2)
	v_fma_f64 v[62:63], v[14:15], v[20:21], v[1:2]
	v_fma_f64 v[64:65], v[14:15], v[22:23], -v[3:4]
	v_mul_f64_e32 v[1:2], v[12:13], v[10:11]
	v_mul_f64_e32 v[3:4], v[12:13], v[8:9]
	scratch_load_b128 v[12:15], off, off offset:420 th:TH_LOAD_LU ; 16-byte Folded Reload
	s_wait_loadcnt 0x0
	v_fma_f64 v[66:67], v[12:13], v[8:9], v[1:2]
	v_fma_f64 v[68:69], v[12:13], v[10:11], -v[3:4]
	v_mul_f64_e32 v[1:2], v[14:15], v[18:19]
	v_mul_f64_e32 v[3:4], v[14:15], v[16:17]
	v_add_f64_e32 v[10:11], v[24:25], v[28:29]
	v_add_f64_e64 v[14:15], v[26:27], -v[30:31]
	s_delay_alu instid0(VALU_DEP_4) | instskip(NEXT) | instid1(VALU_DEP_4)
	v_fma_f64 v[72:73], v[5:6], v[16:17], v[1:2]
	v_fma_f64 v[74:75], v[5:6], v[18:19], -v[3:4]
	ds_load_b128 v[2:5], v71
	ds_load_b128 v[6:9], v71 offset:1792
	v_add_f64_e64 v[18:19], v[24:25], -v[28:29]
	s_wait_dscnt 0x1
	v_fma_f64 v[12:13], v[10:11], -0.5, v[2:3]
	v_add_f64_e32 v[10:11], v[26:27], v[30:31]
	v_add_f64_e32 v[1:2], v[2:3], v[24:25]
	s_delay_alu instid0(VALU_DEP_2) | instskip(SKIP_1) | instid1(VALU_DEP_3)
	v_fma_f64 v[16:17], v[10:11], -0.5, v[4:5]
	v_add_f64_e32 v[4:5], v[4:5], v[26:27]
	v_add_f64_e32 v[2:3], v[1:2], v[28:29]
	v_fma_f64 v[10:11], v[14:15], s[0:1], v[12:13]
	s_wait_alu 0xfffe
	v_fma_f64 v[14:15], v[14:15], s[8:9], v[12:13]
	v_fma_f64 v[12:13], v[18:19], s[8:9], v[16:17]
	v_add_f64_e32 v[4:5], v[4:5], v[30:31]
	v_fma_f64 v[16:17], v[18:19], s[0:1], v[16:17]
	ds_load_b128 v[18:21], v71 offset:3584
	ds_load_b128 v[22:25], v71 offset:5376
	ds_load_b128 v[26:29], v71 offset:7168
	ds_load_b128 v[30:33], v71 offset:8960
	global_wb scope:SCOPE_SE
	s_wait_dscnt 0x0
	s_barrier_signal -1
	s_barrier_wait -1
	global_inv scope:SCOPE_SE
	scratch_load_b32 v1, off, off offset:504 th:TH_LOAD_LU ; 4-byte Folded Reload
	s_wait_loadcnt 0x0
	ds_store_b128 v1, v[2:5]
	ds_store_b128 v1, v[10:13] offset:512
	ds_store_b128 v1, v[14:17] offset:1024
	v_add_f64_e32 v[1:2], v[72:73], v[62:63]
	v_add_f64_e64 v[14:15], v[72:73], -v[62:63]
	s_delay_alu instid0(VALU_DEP_2) | instskip(SKIP_2) | instid1(VALU_DEP_2)
	v_fma_f64 v[10:11], v[1:2], -0.5, v[6:7]
	v_add_f64_e32 v[1:2], v[74:75], v[64:65]
	v_add_f64_e32 v[6:7], v[6:7], v[72:73]
	v_fma_f64 v[12:13], v[1:2], -0.5, v[8:9]
	v_add_f64_e32 v[1:2], v[8:9], v[74:75]
	v_add_f64_e64 v[8:9], v[74:75], -v[64:65]
	s_delay_alu instid0(VALU_DEP_2)
	v_add_f64_e32 v[4:5], v[1:2], v[64:65]
	scratch_load_b32 v1, off, off offset:624 th:TH_LOAD_LU ; 4-byte Folded Reload
	v_add_f64_e32 v[2:3], v[6:7], v[62:63]
	v_fma_f64 v[6:7], v[8:9], s[0:1], v[10:11]
	v_fma_f64 v[10:11], v[8:9], s[8:9], v[10:11]
	v_fma_f64 v[8:9], v[14:15], s[8:9], v[12:13]
	v_fma_f64 v[12:13], v[14:15], s[0:1], v[12:13]
	s_wait_loadcnt 0x0
	ds_store_b128 v1, v[2:5]
	ds_store_b128 v1, v[6:9] offset:512
	ds_store_b128 v1, v[10:13] offset:1024
	v_add_f64_e32 v[1:2], v[42:43], v[50:51]
	v_add_f64_e32 v[5:6], v[18:19], v[42:43]
	v_add_f64_e64 v[9:10], v[44:45], -v[52:53]
	v_add_f64_e64 v[13:14], v[42:43], -v[50:51]
	s_delay_alu instid0(VALU_DEP_4) | instskip(SKIP_1) | instid1(VALU_DEP_1)
	v_fma_f64 v[7:8], v[1:2], -0.5, v[18:19]
	v_add_f64_e32 v[1:2], v[44:45], v[52:53]
	v_fma_f64 v[11:12], v[1:2], -0.5, v[20:21]
	v_add_f64_e32 v[1:2], v[20:21], v[44:45]
	s_delay_alu instid0(VALU_DEP_1)
	v_add_f64_e32 v[3:4], v[1:2], v[52:53]
	v_add_f64_e32 v[1:2], v[5:6], v[50:51]
	v_fma_f64 v[5:6], v[9:10], s[0:1], v[7:8]
	v_fma_f64 v[9:10], v[9:10], s[8:9], v[7:8]
	v_fma_f64 v[7:8], v[13:14], s[8:9], v[11:12]
	v_fma_f64 v[11:12], v[13:14], s[0:1], v[11:12]
	scratch_load_b32 v13, off, off offset:620 th:TH_LOAD_LU ; 4-byte Folded Reload
	s_wait_loadcnt 0x0
	ds_store_b128 v13, v[1:4]
	ds_store_b128 v13, v[5:8] offset:512
	ds_store_b128 v13, v[9:12] offset:1024
	v_add_f64_e32 v[1:2], v[34:35], v[38:39]
	v_add_f64_e32 v[5:6], v[22:23], v[34:35]
	v_add_f64_e64 v[9:10], v[36:37], -v[40:41]
	v_add_f64_e64 v[13:14], v[34:35], -v[38:39]
	s_delay_alu instid0(VALU_DEP_4) | instskip(SKIP_1) | instid1(VALU_DEP_1)
	v_fma_f64 v[7:8], v[1:2], -0.5, v[22:23]
	v_add_f64_e32 v[1:2], v[36:37], v[40:41]
	v_fma_f64 v[11:12], v[1:2], -0.5, v[24:25]
	v_add_f64_e32 v[1:2], v[24:25], v[36:37]
	s_delay_alu instid0(VALU_DEP_1)
	v_add_f64_e32 v[3:4], v[1:2], v[40:41]
	v_add_f64_e32 v[1:2], v[5:6], v[38:39]
	v_fma_f64 v[5:6], v[9:10], s[0:1], v[7:8]
	v_fma_f64 v[9:10], v[9:10], s[8:9], v[7:8]
	v_fma_f64 v[7:8], v[13:14], s[8:9], v[11:12]
	v_fma_f64 v[11:12], v[13:14], s[0:1], v[11:12]
	scratch_load_b32 v13, off, off offset:616 th:TH_LOAD_LU ; 4-byte Folded Reload
	s_wait_loadcnt 0x0
	ds_store_b128 v13, v[1:4]
	ds_store_b128 v13, v[5:8] offset:512
	ds_store_b128 v13, v[9:12] offset:1024
	v_add_f64_e32 v[1:2], v[46:47], v[54:55]
	v_add_f64_e32 v[5:6], v[26:27], v[46:47]
	v_add_f64_e64 v[9:10], v[48:49], -v[56:57]
	v_add_f64_e64 v[13:14], v[46:47], -v[54:55]
	s_delay_alu instid0(VALU_DEP_4) | instskip(SKIP_1) | instid1(VALU_DEP_1)
	v_fma_f64 v[7:8], v[1:2], -0.5, v[26:27]
	v_add_f64_e32 v[1:2], v[48:49], v[56:57]
	v_fma_f64 v[11:12], v[1:2], -0.5, v[28:29]
	v_add_f64_e32 v[1:2], v[28:29], v[48:49]
	s_delay_alu instid0(VALU_DEP_1)
	v_add_f64_e32 v[3:4], v[1:2], v[56:57]
	v_add_f64_e32 v[1:2], v[5:6], v[54:55]
	v_fma_f64 v[5:6], v[9:10], s[0:1], v[7:8]
	v_fma_f64 v[9:10], v[9:10], s[8:9], v[7:8]
	v_fma_f64 v[7:8], v[13:14], s[8:9], v[11:12]
	v_fma_f64 v[11:12], v[13:14], s[0:1], v[11:12]
	scratch_load_b32 v13, off, off offset:612 th:TH_LOAD_LU ; 4-byte Folded Reload
	s_wait_loadcnt 0x0
	ds_store_b128 v13, v[1:4]
	ds_store_b128 v13, v[5:8] offset:512
	ds_store_b128 v13, v[9:12] offset:1024
	v_add_f64_e32 v[1:2], v[66:67], v[58:59]
	v_add_f64_e32 v[5:6], v[30:31], v[66:67]
	v_add_f64_e64 v[9:10], v[68:69], -v[60:61]
	v_add_f64_e64 v[13:14], v[66:67], -v[58:59]
	s_delay_alu instid0(VALU_DEP_4) | instskip(SKIP_1) | instid1(VALU_DEP_1)
	v_fma_f64 v[7:8], v[1:2], -0.5, v[30:31]
	v_add_f64_e32 v[1:2], v[68:69], v[60:61]
	v_fma_f64 v[11:12], v[1:2], -0.5, v[32:33]
	v_add_f64_e32 v[1:2], v[32:33], v[68:69]
	s_delay_alu instid0(VALU_DEP_1)
	v_add_f64_e32 v[3:4], v[1:2], v[60:61]
	v_add_f64_e32 v[1:2], v[5:6], v[58:59]
	v_fma_f64 v[5:6], v[9:10], s[0:1], v[7:8]
	v_fma_f64 v[9:10], v[9:10], s[8:9], v[7:8]
	v_fma_f64 v[7:8], v[13:14], s[8:9], v[11:12]
	v_fma_f64 v[11:12], v[13:14], s[0:1], v[11:12]
	scratch_load_b32 v13, off, off offset:608 th:TH_LOAD_LU ; 4-byte Folded Reload
	s_wait_loadcnt 0x0
	ds_store_b128 v13, v[1:4]
	ds_store_b128 v13, v[5:8] offset:512
	ds_store_b128 v13, v[9:12] offset:1024
	global_wb scope:SCOPE_SE
	s_wait_dscnt 0x0
	s_barrier_signal -1
	s_barrier_wait -1
	global_inv scope:SCOPE_SE
	ds_load_b128 v[1:4], v71 offset:10752
	ds_load_b128 v[5:8], v71 offset:12544
	scratch_load_b128 v[15:18], off, off offset:516 th:TH_LOAD_LU ; 16-byte Folded Reload
	s_wait_loadcnt_dscnt 0x1
	v_mul_f64_e32 v[9:10], v[17:18], v[3:4]
	v_mul_f64_e32 v[11:12], v[17:18], v[1:2]
	s_delay_alu instid0(VALU_DEP_2) | instskip(NEXT) | instid1(VALU_DEP_2)
	v_fma_f64 v[13:14], v[15:16], v[1:2], v[9:10]
	v_fma_f64 v[15:16], v[15:16], v[3:4], -v[11:12]
	ds_load_b128 v[1:4], v71 offset:21504
	ds_load_b128 v[9:12], v71 offset:23296
	s_wait_dscnt 0x1
	v_mul_f64_e32 v[17:18], v[118:119], v[3:4]
	s_delay_alu instid0(VALU_DEP_1) | instskip(SKIP_1) | instid1(VALU_DEP_1)
	v_fma_f64 v[17:18], v[116:117], v[1:2], v[17:18]
	v_mul_f64_e32 v[1:2], v[118:119], v[1:2]
	v_fma_f64 v[19:20], v[116:117], v[3:4], -v[1:2]
	v_mul_f64_e32 v[1:2], v[158:159], v[7:8]
	v_mul_f64_e32 v[3:4], v[158:159], v[5:6]
	s_delay_alu instid0(VALU_DEP_3) | instskip(NEXT) | instid1(VALU_DEP_3)
	v_add_f64_e32 v[23:24], v[15:16], v[19:20]
	v_fma_f64 v[33:34], v[156:157], v[5:6], v[1:2]
	s_delay_alu instid0(VALU_DEP_3)
	v_fma_f64 v[35:36], v[156:157], v[7:8], -v[3:4]
	s_wait_dscnt 0x0
	v_mul_f64_e32 v[5:6], v[138:139], v[11:12]
	v_mul_f64_e32 v[7:8], v[138:139], v[9:10]
	ds_load_b128 v[1:4], v71 offset:14336
	v_fma_f64 v[37:38], v[136:137], v[9:10], v[5:6]
	v_fma_f64 v[39:40], v[136:137], v[11:12], -v[7:8]
	ds_load_b128 v[5:8], v71 offset:16128
	s_wait_dscnt 0x1
	v_mul_f64_e32 v[9:10], v[154:155], v[3:4]
	v_mul_f64_e32 v[11:12], v[154:155], v[1:2]
	s_delay_alu instid0(VALU_DEP_2) | instskip(NEXT) | instid1(VALU_DEP_2)
	v_fma_f64 v[41:42], v[152:153], v[1:2], v[9:10]
	v_fma_f64 v[43:44], v[152:153], v[3:4], -v[11:12]
	ds_load_b128 v[1:4], v71 offset:25088
	ds_load_b128 v[9:12], v71 offset:26880
	s_wait_dscnt 0x1
	v_mul_f64_e32 v[21:22], v[146:147], v[3:4]
	s_delay_alu instid0(VALU_DEP_1) | instskip(SKIP_1) | instid1(VALU_DEP_1)
	v_fma_f64 v[45:46], v[144:145], v[1:2], v[21:22]
	v_mul_f64_e32 v[1:2], v[146:147], v[1:2]
	v_fma_f64 v[47:48], v[144:145], v[3:4], -v[1:2]
	v_mul_f64_e32 v[1:2], v[174:175], v[7:8]
	v_mul_f64_e32 v[3:4], v[174:175], v[5:6]
	s_delay_alu instid0(VALU_DEP_2) | instskip(NEXT) | instid1(VALU_DEP_2)
	v_fma_f64 v[49:50], v[172:173], v[5:6], v[1:2]
	v_fma_f64 v[51:52], v[172:173], v[7:8], -v[3:4]
	s_wait_dscnt 0x0
	v_mul_f64_e32 v[5:6], v[170:171], v[11:12]
	v_mul_f64_e32 v[7:8], v[170:171], v[9:10]
	ds_load_b128 v[1:4], v71 offset:17920
	v_fma_f64 v[53:54], v[168:169], v[9:10], v[5:6]
	v_fma_f64 v[55:56], v[168:169], v[11:12], -v[7:8]
	ds_load_b128 v[5:8], v71 offset:19712
	s_wait_dscnt 0x1
	v_mul_f64_e32 v[9:10], v[178:179], v[3:4]
	v_mul_f64_e32 v[11:12], v[178:179], v[1:2]
	s_delay_alu instid0(VALU_DEP_2) | instskip(NEXT) | instid1(VALU_DEP_2)
	v_fma_f64 v[57:58], v[176:177], v[1:2], v[9:10]
	v_fma_f64 v[59:60], v[176:177], v[3:4], -v[11:12]
	ds_load_b128 v[1:4], v71 offset:28672
	ds_load_b128 v[9:12], v71 offset:30464
	s_wait_dscnt 0x1
	v_mul_f64_e32 v[21:22], v[182:183], v[3:4]
	s_delay_alu instid0(VALU_DEP_1) | instskip(SKIP_2) | instid1(VALU_DEP_2)
	v_fma_f64 v[61:62], v[180:181], v[1:2], v[21:22]
	v_mul_f64_e32 v[1:2], v[182:183], v[1:2]
	v_add_f64_e32 v[21:22], v[13:14], v[17:18]
	v_fma_f64 v[63:64], v[180:181], v[3:4], -v[1:2]
	v_mul_f64_e32 v[1:2], v[190:191], v[7:8]
	v_mul_f64_e32 v[3:4], v[190:191], v[5:6]
	s_delay_alu instid0(VALU_DEP_2) | instskip(NEXT) | instid1(VALU_DEP_2)
	v_fma_f64 v[65:66], v[188:189], v[5:6], v[1:2]
	v_fma_f64 v[67:68], v[188:189], v[7:8], -v[3:4]
	s_wait_dscnt 0x0
	v_mul_f64_e32 v[1:2], v[122:123], v[11:12]
	v_mul_f64_e32 v[3:4], v[122:123], v[9:10]
	s_delay_alu instid0(VALU_DEP_2) | instskip(NEXT) | instid1(VALU_DEP_2)
	v_fma_f64 v[80:81], v[120:121], v[9:10], v[1:2]
	v_fma_f64 v[76:77], v[120:121], v[11:12], -v[3:4]
	ds_load_b128 v[1:4], v71
	ds_load_b128 v[5:8], v71 offset:1792
	s_wait_dscnt 0x1
	v_fma_f64 v[11:12], v[21:22], -0.5, v[1:2]
	v_fma_f64 v[21:22], v[23:24], -0.5, v[3:4]
	v_add_f64_e32 v[3:4], v[3:4], v[15:16]
	v_add_f64_e32 v[1:2], v[1:2], v[13:14]
	v_add_f64_e64 v[15:16], v[15:16], -v[19:20]
	v_add_f64_e64 v[23:24], v[13:14], -v[17:18]
	s_delay_alu instid0(VALU_DEP_4) | instskip(NEXT) | instid1(VALU_DEP_4)
	v_add_f64_e32 v[3:4], v[3:4], v[19:20]
	v_add_f64_e32 v[1:2], v[1:2], v[17:18]
	s_delay_alu instid0(VALU_DEP_4)
	v_fma_f64 v[9:10], v[15:16], s[0:1], v[11:12]
	v_fma_f64 v[13:14], v[15:16], s[8:9], v[11:12]
	;; [unrolled: 1-line block ×4, first 2 shown]
	ds_load_b128 v[17:20], v71 offset:3584
	ds_load_b128 v[21:24], v71 offset:5376
	;; [unrolled: 1-line block ×4, first 2 shown]
	global_wb scope:SCOPE_SE
	s_wait_dscnt 0x0
	s_barrier_signal -1
	s_barrier_wait -1
	global_inv scope:SCOPE_SE
	scratch_load_b32 v69, off, off offset:600 th:TH_LOAD_LU ; 4-byte Folded Reload
	s_wait_loadcnt 0x0
	ds_store_b128 v69, v[1:4]
	ds_store_b128 v69, v[9:12] offset:1536
	ds_store_b128 v69, v[13:16] offset:3072
	v_add_f64_e32 v[1:2], v[33:34], v[37:38]
	v_add_f64_e64 v[13:14], v[33:34], -v[37:38]
	s_delay_alu instid0(VALU_DEP_2) | instskip(SKIP_2) | instid1(VALU_DEP_2)
	v_fma_f64 v[9:10], v[1:2], -0.5, v[5:6]
	v_add_f64_e32 v[1:2], v[35:36], v[39:40]
	v_add_f64_e32 v[5:6], v[5:6], v[33:34]
	v_fma_f64 v[11:12], v[1:2], -0.5, v[7:8]
	v_add_f64_e32 v[1:2], v[7:8], v[35:36]
	v_add_f64_e64 v[7:8], v[35:36], -v[39:40]
	s_delay_alu instid0(VALU_DEP_2) | instskip(SKIP_1) | instid1(VALU_DEP_3)
	v_add_f64_e32 v[3:4], v[1:2], v[39:40]
	v_add_f64_e32 v[1:2], v[5:6], v[37:38]
	v_fma_f64 v[5:6], v[7:8], s[0:1], v[9:10]
	v_fma_f64 v[9:10], v[7:8], s[8:9], v[9:10]
	;; [unrolled: 1-line block ×4, first 2 shown]
	v_add_f64_e32 v[13:14], v[41:42], v[45:46]
	v_add_f64_e64 v[37:38], v[41:42], -v[45:46]
	s_delay_alu instid0(VALU_DEP_2) | instskip(SKIP_3) | instid1(VALU_DEP_3)
	v_fma_f64 v[33:34], v[13:14], -0.5, v[17:18]
	v_add_f64_e32 v[13:14], v[43:44], v[47:48]
	v_add_f64_e32 v[17:18], v[17:18], v[41:42]
	v_add_f64_e64 v[41:42], v[51:52], -v[55:56]
	v_fma_f64 v[35:36], v[13:14], -0.5, v[19:20]
	v_add_f64_e32 v[13:14], v[19:20], v[43:44]
	v_add_f64_e64 v[19:20], v[43:44], -v[47:48]
	s_delay_alu instid0(VALU_DEP_2) | instskip(SKIP_1) | instid1(VALU_DEP_3)
	v_add_f64_e32 v[15:16], v[13:14], v[47:48]
	v_add_f64_e32 v[13:14], v[17:18], v[45:46]
	v_fma_f64 v[17:18], v[19:20], s[0:1], v[33:34]
	v_fma_f64 v[33:34], v[19:20], s[8:9], v[33:34]
	;; [unrolled: 1-line block ×4, first 2 shown]
	v_add_f64_e32 v[37:38], v[49:50], v[53:54]
	v_add_f64_e64 v[45:46], v[49:50], -v[53:54]
	s_delay_alu instid0(VALU_DEP_2) | instskip(SKIP_2) | instid1(VALU_DEP_2)
	v_fma_f64 v[39:40], v[37:38], -0.5, v[21:22]
	v_add_f64_e32 v[37:38], v[51:52], v[55:56]
	v_add_f64_e32 v[21:22], v[21:22], v[49:50]
	v_fma_f64 v[43:44], v[37:38], -0.5, v[23:24]
	s_delay_alu instid0(VALU_DEP_4)
	v_fma_f64 v[37:38], v[41:42], s[0:1], v[39:40]
	v_fma_f64 v[41:42], v[41:42], s[8:9], v[39:40]
	v_add_f64_e32 v[23:24], v[23:24], v[51:52]
	v_add_f64_e32 v[21:22], v[21:22], v[53:54]
	v_add_f64_e64 v[51:52], v[59:60], -v[63:64]
	v_add_f64_e64 v[53:54], v[57:58], -v[61:62]
	v_fma_f64 v[39:40], v[45:46], s[8:9], v[43:44]
	v_fma_f64 v[43:44], v[45:46], s[0:1], v[43:44]
	v_add_f64_e32 v[45:46], v[57:58], v[61:62]
	v_add_f64_e32 v[23:24], v[23:24], v[55:56]
	s_delay_alu instid0(VALU_DEP_2) | instskip(SKIP_2) | instid1(VALU_DEP_3)
	v_fma_f64 v[47:48], v[45:46], -0.5, v[25:26]
	v_add_f64_e32 v[45:46], v[59:60], v[63:64]
	v_add_f64_e32 v[25:26], v[25:26], v[57:58]
	v_fma_f64 v[72:73], v[51:52], s[8:9], v[47:48]
	s_delay_alu instid0(VALU_DEP_3)
	v_fma_f64 v[49:50], v[45:46], -0.5, v[27:28]
	v_fma_f64 v[45:46], v[51:52], s[0:1], v[47:48]
	v_add_f64_e32 v[51:52], v[67:68], v[76:77]
	v_add_f64_e32 v[27:28], v[27:28], v[59:60]
	;; [unrolled: 1-line block ×3, first 2 shown]
	v_fma_f64 v[47:48], v[53:54], s[8:9], v[49:50]
	v_fma_f64 v[74:75], v[53:54], s[0:1], v[49:50]
	v_add_f64_e32 v[49:50], v[65:66], v[80:81]
	v_fma_f64 v[51:52], v[51:52], -0.5, v[31:32]
	v_add_f64_e32 v[31:32], v[31:32], v[67:68]
	v_add_f64_e64 v[53:54], v[67:68], -v[76:77]
	v_add_f64_e32 v[27:28], v[27:28], v[63:64]
	v_fma_f64 v[49:50], v[49:50], -0.5, v[29:30]
	v_add_f64_e32 v[29:30], v[29:30], v[65:66]
	v_add_f64_e32 v[78:79], v[31:32], v[76:77]
	s_delay_alu instid0(VALU_DEP_3) | instskip(NEXT) | instid1(VALU_DEP_3)
	v_fma_f64 v[84:85], v[53:54], s[8:9], v[49:50]
	v_add_f64_e32 v[76:77], v[29:30], v[80:81]
	v_add_f64_e64 v[29:30], v[65:66], -v[80:81]
	v_fma_f64 v[80:81], v[53:54], s[0:1], v[49:50]
	s_delay_alu instid0(VALU_DEP_2)
	v_fma_f64 v[82:83], v[29:30], s[8:9], v[51:52]
	v_fma_f64 v[86:87], v[29:30], s[0:1], v[51:52]
	scratch_load_b32 v29, off, off offset:584 th:TH_LOAD_LU ; 4-byte Folded Reload
	s_wait_loadcnt 0x0
	ds_store_b128 v29, v[1:4]
	ds_store_b128 v29, v[5:8] offset:1536
	ds_store_b128 v29, v[9:12] offset:3072
	scratch_load_b32 v1, off, off offset:588 th:TH_LOAD_LU ; 4-byte Folded Reload
	s_wait_loadcnt 0x0
	ds_store_b128 v1, v[13:16]
	ds_store_b128 v1, v[17:20] offset:1536
	ds_store_b128 v1, v[33:36] offset:3072
	;; [unrolled: 5-line block ×5, first 2 shown]
	global_wb scope:SCOPE_SE
	s_wait_dscnt 0x0
	s_barrier_signal -1
	s_barrier_wait -1
	global_inv scope:SCOPE_SE
	ds_load_b128 v[92:95], v71
	ds_load_b128 v[88:91], v71 offset:1792
	ds_load_b128 v[136:139], v71 offset:4608
	ds_load_b128 v[112:115], v71 offset:6400
	ds_load_b128 v[144:147], v71 offset:9216
	ds_load_b128 v[116:119], v71 offset:11008
	ds_load_b128 v[104:107], v71 offset:13824
	ds_load_b128 v[96:99], v71 offset:15616
	ds_load_b128 v[108:111], v71 offset:18432
	ds_load_b128 v[100:103], v71 offset:20224
	ds_load_b128 v[152:155], v71 offset:23040
	ds_load_b128 v[120:123], v71 offset:24832
	ds_load_b128 v[156:159], v71 offset:27648
	ds_load_b128 v[124:127], v71 offset:29440
	s_and_saveexec_b32 s0, vcc_lo
	s_cbranch_execz .LBB0_7
; %bb.6:
	ds_load_b128 v[72:75], v71 offset:3584
	ds_load_b128 v[76:79], v71 offset:8192
	;; [unrolled: 1-line block ×7, first 2 shown]
.LBB0_7:
	s_wait_alu 0xfffe
	s_or_b32 exec_lo, exec_lo, s0
	s_wait_dscnt 0xb
	v_mul_f64_e32 v[1:2], v[186:187], v[138:139]
	v_mul_f64_e32 v[3:4], v[186:187], v[136:137]
	s_wait_dscnt 0x9
	v_mul_f64_e32 v[5:6], v[194:195], v[146:147]
	v_mul_f64_e32 v[7:8], v[194:195], v[144:145]
	s_wait_dscnt 0x1
	v_mul_f64_e32 v[9:10], v[198:199], v[158:159]
	v_mul_f64_e32 v[11:12], v[198:199], v[156:157]
	v_mul_f64_e32 v[13:14], v[202:203], v[154:155]
	v_mul_f64_e32 v[15:16], v[202:203], v[152:153]
	;; [unrolled: 1-line block ×6, first 2 shown]
	s_wait_dscnt 0x0
	v_mul_f64_e32 v[25:26], v[214:215], v[126:127]
	v_mul_f64_e32 v[27:28], v[214:215], v[124:125]
	;; [unrolled: 1-line block ×12, first 2 shown]
	s_mov_b32 s12, 0x37e14327
	s_mov_b32 s14, 0xe976ee23
	;; [unrolled: 1-line block ×14, first 2 shown]
	v_fma_f64 v[1:2], v[184:185], v[136:137], v[1:2]
	v_fma_f64 v[3:4], v[184:185], v[138:139], -v[3:4]
	v_fma_f64 v[5:6], v[192:193], v[144:145], v[5:6]
	v_fma_f64 v[7:8], v[192:193], v[146:147], -v[7:8]
	;; [unrolled: 2-line block ×12, first 2 shown]
	s_mov_b32 s19, 0xbfe77f67
	s_mov_b32 s23, 0x3fd5d0dc
	s_wait_alu 0xfffe
	s_mov_b32 s18, s16
	s_mov_b32 s22, s20
	s_mov_b32 s24, 0x37c3f68c
	s_mov_b32 s25, 0xbfdc38aa
	v_add_f64_e32 v[49:50], v[1:2], v[9:10]
	v_add_f64_e32 v[51:52], v[3:4], v[11:12]
	;; [unrolled: 1-line block ×4, first 2 shown]
	v_add_f64_e64 v[5:6], v[5:6], -v[13:14]
	v_add_f64_e64 v[7:8], v[7:8], -v[15:16]
	;; [unrolled: 1-line block ×4, first 2 shown]
	v_add_f64_e32 v[57:58], v[17:18], v[25:26]
	v_add_f64_e32 v[59:60], v[19:20], v[27:28]
	;; [unrolled: 1-line block ×4, first 2 shown]
	v_add_f64_e64 v[21:22], v[21:22], -v[29:30]
	v_add_f64_e64 v[23:24], v[23:24], -v[31:32]
	v_add_f64_e32 v[65:66], v[33:34], v[37:38]
	v_add_f64_e32 v[67:68], v[35:36], v[39:40]
	v_add_f64_e64 v[13:14], v[37:38], -v[33:34]
	v_add_f64_e64 v[15:16], v[39:40], -v[35:36]
	v_add_f64_e32 v[29:30], v[41:42], v[45:46]
	v_add_f64_e32 v[31:32], v[43:44], v[47:48]
	v_add_f64_e64 v[33:34], v[45:46], -v[41:42]
	v_add_f64_e64 v[35:36], v[47:48], -v[43:44]
	;; [unrolled: 1-line block ×4, first 2 shown]
	v_add_f64_e32 v[1:2], v[53:54], v[49:50]
	v_add_f64_e32 v[3:4], v[55:56], v[51:52]
	v_add_f64_e64 v[96:97], v[5:6], -v[9:10]
	v_add_f64_e64 v[98:99], v[7:8], -v[11:12]
	v_add_f64_e32 v[25:26], v[61:62], v[57:58]
	v_add_f64_e32 v[27:28], v[63:64], v[59:60]
	v_add_f64_e64 v[37:38], v[49:50], -v[65:66]
	v_add_f64_e64 v[39:40], v[51:52], -v[67:68]
	v_add_f64_e64 v[41:42], v[65:66], -v[53:54]
	v_add_f64_e64 v[43:44], v[67:68], -v[55:56]
	v_add_f64_e64 v[45:46], v[13:14], -v[5:6]
	v_add_f64_e64 v[47:48], v[15:16], -v[7:8]
	v_add_f64_e64 v[100:101], v[57:58], -v[29:30]
	v_add_f64_e64 v[102:103], v[59:60], -v[31:32]
	v_add_f64_e64 v[104:105], v[33:34], -v[21:22]
	v_add_f64_e64 v[106:107], v[35:36], -v[23:24]
	v_add_f64_e64 v[108:109], v[21:22], -v[17:18]
	v_add_f64_e64 v[110:111], v[23:24], -v[19:20]
	v_add_f64_e64 v[49:50], v[53:54], -v[49:50]
	v_add_f64_e64 v[51:52], v[55:56], -v[51:52]
	v_add_f64_e32 v[53:54], v[13:14], v[5:6]
	v_add_f64_e32 v[55:56], v[15:16], v[7:8]
	v_add_f64_e64 v[13:14], v[9:10], -v[13:14]
	v_add_f64_e64 v[15:16], v[11:12], -v[15:16]
	v_add_f64_e32 v[21:22], v[33:34], v[21:22]
	v_add_f64_e32 v[23:24], v[35:36], v[23:24]
	v_add_f64_e64 v[33:34], v[17:18], -v[33:34]
	v_add_f64_e64 v[35:36], v[19:20], -v[35:36]
	;; [unrolled: 1-line block ×4, first 2 shown]
	v_add_f64_e32 v[65:66], v[65:66], v[1:2]
	v_add_f64_e32 v[67:68], v[67:68], v[3:4]
	v_mul_f64_e32 v[116:117], s[0:1], v[96:97]
	v_mul_f64_e32 v[118:119], s[0:1], v[98:99]
	v_add_f64_e32 v[25:26], v[29:30], v[25:26]
	v_add_f64_e32 v[27:28], v[31:32], v[27:28]
	v_add_f64_e64 v[29:30], v[29:30], -v[61:62]
	v_add_f64_e64 v[31:32], v[31:32], -v[63:64]
	v_mul_f64_e32 v[37:38], s[12:13], v[37:38]
	v_mul_f64_e32 v[39:40], s[12:13], v[39:40]
	;; [unrolled: 1-line block ×6, first 2 shown]
	v_add_f64_e32 v[9:10], v[53:54], v[9:10]
	v_add_f64_e32 v[11:12], v[55:56], v[11:12]
	;; [unrolled: 1-line block ×6, first 2 shown]
	v_mul_f64_e32 v[92:93], s[12:13], v[100:101]
	v_mul_f64_e32 v[94:95], s[12:13], v[102:103]
	;; [unrolled: 1-line block ×6, first 2 shown]
	v_add_f64_e32 v[5:6], v[88:89], v[25:26]
	v_add_f64_e32 v[7:8], v[90:91], v[27:28]
	v_mul_f64_e32 v[61:62], s[8:9], v[29:30]
	v_mul_f64_e32 v[63:64], s[8:9], v[31:32]
	v_fma_f64 v[21:22], v[41:42], s[8:9], v[37:38]
	v_fma_f64 v[23:24], v[43:44], s[8:9], v[39:40]
	s_wait_alu 0xfffe
	v_fma_f64 v[37:38], v[49:50], s[18:19], -v[37:38]
	v_fma_f64 v[39:40], v[51:52], s[18:19], -v[39:40]
	v_fma_f64 v[53:54], v[13:14], s[20:21], v[45:46]
	v_fma_f64 v[55:56], v[15:16], s[20:21], v[47:48]
	v_fma_f64 v[13:14], v[13:14], s[22:23], -v[116:117]
	v_fma_f64 v[15:16], v[15:16], s[22:23], -v[118:119]
	;; [unrolled: 1-line block ×6, first 2 shown]
	v_fma_f64 v[65:66], v[65:66], s[10:11], v[1:2]
	v_fma_f64 v[67:68], v[67:68], s[10:11], v[3:4]
	;; [unrolled: 1-line block ×6, first 2 shown]
	v_fma_f64 v[88:89], v[108:109], s[0:1], -v[100:101]
	v_fma_f64 v[90:91], v[110:111], s[0:1], -v[102:103]
	v_fma_f64 v[25:26], v[25:26], s[10:11], v[5:6]
	v_fma_f64 v[27:28], v[27:28], s[10:11], v[7:8]
	v_fma_f64 v[33:34], v[33:34], s[22:23], -v[104:105]
	v_fma_f64 v[35:36], v[35:36], s[22:23], -v[106:107]
	;; [unrolled: 1-line block ×6, first 2 shown]
	v_fma_f64 v[53:54], v[9:10], s[24:25], v[53:54]
	v_fma_f64 v[55:56], v[11:12], s[24:25], v[55:56]
	;; [unrolled: 1-line block ×6, first 2 shown]
	v_add_f64_e32 v[96:97], v[21:22], v[65:66]
	v_add_f64_e32 v[98:99], v[23:24], v[67:68]
	;; [unrolled: 1-line block ×6, first 2 shown]
	v_fma_f64 v[65:66], v[17:18], s[24:25], v[49:50]
	v_fma_f64 v[67:68], v[19:20], s[24:25], v[51:52]
	v_add_f64_e32 v[100:101], v[29:30], v[25:26]
	v_add_f64_e32 v[102:103], v[31:32], v[27:28]
	v_fma_f64 v[49:50], v[17:18], s[24:25], v[88:89]
	v_fma_f64 v[51:52], v[19:20], s[24:25], v[90:91]
	;; [unrolled: 1-line block ×4, first 2 shown]
	v_add_f64_e32 v[92:93], v[92:93], v[25:26]
	v_add_f64_e32 v[94:95], v[94:95], v[27:28]
	;; [unrolled: 1-line block ×5, first 2 shown]
	v_add_f64_e64 v[11:12], v[98:99], -v[53:54]
	v_add_f64_e32 v[13:14], v[63:64], v[37:38]
	v_add_f64_e64 v[15:16], v[39:40], -v[61:62]
	v_add_f64_e64 v[17:18], v[21:22], -v[47:48]
	v_add_f64_e32 v[19:20], v[45:46], v[23:24]
	v_add_f64_e32 v[21:22], v[47:48], v[21:22]
	v_add_f64_e64 v[23:24], v[23:24], -v[45:46]
	v_add_f64_e64 v[25:26], v[37:38], -v[63:64]
	v_add_f64_e32 v[27:28], v[61:62], v[39:40]
	v_add_f64_e64 v[29:30], v[96:97], -v[55:56]
	v_add_f64_e32 v[31:32], v[53:54], v[98:99]
	v_add_f64_e32 v[33:34], v[67:68], v[100:101]
	v_add_f64_e64 v[35:36], v[102:103], -v[65:66]
	v_add_f64_e32 v[37:38], v[90:91], v[92:93]
	v_add_f64_e64 v[39:40], v[94:95], -v[88:89]
	v_add_f64_e64 v[41:42], v[57:58], -v[51:52]
	v_add_f64_e32 v[43:44], v[49:50], v[59:60]
	v_add_f64_e32 v[45:46], v[51:52], v[57:58]
	v_add_f64_e64 v[47:48], v[59:60], -v[49:50]
	v_add_f64_e64 v[49:50], v[92:93], -v[90:91]
	v_add_f64_e32 v[51:52], v[88:89], v[94:95]
	v_add_f64_e64 v[53:54], v[100:101], -v[67:68]
	v_add_f64_e32 v[55:56], v[65:66], v[102:103]
	ds_store_b128 v71, v[1:4]
	ds_store_b128 v0, v[9:12] offset:4608
	ds_store_b128 v0, v[13:16] offset:9216
	;; [unrolled: 1-line block ×13, first 2 shown]
	s_and_saveexec_b32 s26, vcc_lo
	s_cbranch_execz .LBB0_9
; %bb.8:
	s_clause 0x4
	scratch_load_b128 v[33:36], off, off offset:660 th:TH_LOAD_LU
	scratch_load_b128 v[37:40], off, off offset:676 th:TH_LOAD_LU
	;; [unrolled: 1-line block ×5, first 2 shown]
	s_wait_loadcnt 0x4
	v_mul_f64_e32 v[1:2], v[35:36], v[160:161]
	s_wait_loadcnt 0x3
	v_mul_f64_e32 v[5:6], v[39:40], v[148:149]
	v_mul_f64_e32 v[15:16], v[39:40], v[150:151]
	scratch_load_b128 v[39:42], off, off offset:692 th:TH_LOAD_LU ; 16-byte Folded Reload
	s_wait_loadcnt 0x3
	v_mul_f64_e32 v[3:4], v[27:28], v[76:77]
	s_wait_loadcnt 0x2
	v_mul_f64_e32 v[7:8], v[31:32], v[80:81]
	v_mul_f64_e32 v[9:10], v[27:28], v[78:79]
	;; [unrolled: 1-line block ×4, first 2 shown]
	s_wait_loadcnt 0x1
	v_mul_f64_e32 v[17:18], v[45:46], v[142:143]
	v_mul_f64_e32 v[23:24], v[45:46], v[140:141]
	v_fma_f64 v[1:2], v[33:34], v[162:163], -v[1:2]
	v_fma_f64 v[5:6], v[37:38], v[150:151], -v[5:6]
	v_fma_f64 v[15:16], v[37:38], v[148:149], v[15:16]
	v_fma_f64 v[3:4], v[25:26], v[78:79], -v[3:4]
	v_fma_f64 v[7:8], v[29:30], v[82:83], -v[7:8]
	v_fma_f64 v[9:10], v[25:26], v[76:77], v[9:10]
	v_fma_f64 v[11:12], v[33:34], v[160:161], v[11:12]
	;; [unrolled: 1-line block ×4, first 2 shown]
	v_fma_f64 v[23:24], v[43:44], v[142:143], -v[23:24]
	v_add_f64_e32 v[25:26], v[3:4], v[1:2]
	v_add_f64_e32 v[27:28], v[7:8], v[5:6]
	v_add_f64_e64 v[5:6], v[7:8], -v[5:6]
	v_add_f64_e32 v[29:30], v[9:10], v[11:12]
	v_add_f64_e32 v[31:32], v[13:14], v[15:16]
	v_add_f64_e64 v[13:14], v[13:14], -v[15:16]
	v_add_f64_e64 v[9:10], v[9:10], -v[11:12]
	;; [unrolled: 1-line block ×3, first 2 shown]
	v_add_f64_e32 v[11:12], v[27:28], v[25:26]
	v_add_f64_e32 v[1:2], v[31:32], v[29:30]
	s_delay_alu instid0(VALU_DEP_4) | instskip(NEXT) | instid1(VALU_DEP_1)
	v_add_f64_e64 v[35:36], v[13:14], -v[9:10]
	v_mul_f64_e32 v[45:46], s[0:1], v[35:36]
	s_wait_loadcnt 0x0
	v_mul_f64_e32 v[19:20], v[41:42], v[86:87]
	v_mul_f64_e32 v[21:22], v[41:42], v[84:85]
	s_delay_alu instid0(VALU_DEP_2) | instskip(NEXT) | instid1(VALU_DEP_2)
	v_fma_f64 v[19:20], v[39:40], v[84:85], v[19:20]
	v_fma_f64 v[21:22], v[39:40], v[86:87], -v[21:22]
	v_add_f64_e64 v[39:40], v[5:6], -v[7:8]
	s_delay_alu instid0(VALU_DEP_3) | instskip(NEXT) | instid1(VALU_DEP_3)
	v_add_f64_e64 v[33:34], v[17:18], -v[19:20]
	v_add_f64_e32 v[15:16], v[21:22], v[23:24]
	v_add_f64_e32 v[17:18], v[19:20], v[17:18]
	v_add_f64_e64 v[19:20], v[23:24], -v[21:22]
	v_mul_f64_e32 v[47:48], s[0:1], v[39:40]
	v_add_f64_e64 v[3:4], v[33:34], -v[13:14]
	v_add_f64_e64 v[21:22], v[25:26], -v[15:16]
	v_add_f64_e64 v[23:24], v[29:30], -v[17:18]
	v_add_f64_e32 v[11:12], v[15:16], v[11:12]
	v_add_f64_e64 v[15:16], v[15:16], -v[27:28]
	v_add_f64_e64 v[37:38], v[19:20], -v[5:6]
	v_add_f64_e32 v[41:42], v[17:18], v[1:2]
	v_add_f64_e64 v[17:18], v[17:18], -v[31:32]
	v_add_f64_e64 v[43:44], v[9:10], -v[33:34]
	v_add_f64_e32 v[13:14], v[33:34], v[13:14]
	v_add_f64_e32 v[5:6], v[19:20], v[5:6]
	v_add_f64_e64 v[19:20], v[7:8], -v[19:20]
	v_add_f64_e64 v[25:26], v[27:28], -v[25:26]
	;; [unrolled: 1-line block ×3, first 2 shown]
	v_mul_f64_e32 v[33:34], s[14:15], v[3:4]
	v_mul_f64_e32 v[21:22], s[12:13], v[21:22]
	;; [unrolled: 1-line block ×3, first 2 shown]
	v_add_f64_e32 v[3:4], v[74:75], v[11:12]
	v_mul_f64_e32 v[27:28], s[8:9], v[15:16]
	v_mul_f64_e32 v[37:38], s[14:15], v[37:38]
	v_add_f64_e32 v[1:2], v[72:73], v[41:42]
	v_mul_f64_e32 v[31:32], s[8:9], v[17:18]
	v_add_f64_e32 v[9:10], v[13:14], v[9:10]
	v_add_f64_e32 v[5:6], v[5:6], v[7:8]
	v_fma_f64 v[7:8], v[43:44], s[20:21], v[33:34]
	v_fma_f64 v[13:14], v[15:16], s[8:9], v[21:22]
	;; [unrolled: 1-line block ×3, first 2 shown]
	v_fma_f64 v[17:18], v[43:44], s[22:23], -v[45:46]
	v_fma_f64 v[33:34], v[35:36], s[0:1], -v[33:34]
	v_fma_f64 v[11:12], v[11:12], s[10:11], v[3:4]
	v_fma_f64 v[21:22], v[25:26], s[18:19], -v[21:22]
	v_fma_f64 v[25:26], v[25:26], s[16:17], -v[27:28]
	v_fma_f64 v[27:28], v[19:20], s[20:21], v[37:38]
	v_fma_f64 v[19:20], v[19:20], s[22:23], -v[47:48]
	v_fma_f64 v[35:36], v[39:40], s[0:1], -v[37:38]
	v_fma_f64 v[37:38], v[41:42], s[10:11], v[1:2]
	v_fma_f64 v[23:24], v[29:30], s[18:19], -v[23:24]
	v_fma_f64 v[29:30], v[29:30], s[16:17], -v[31:32]
	v_fma_f64 v[31:32], v[9:10], s[24:25], v[7:8]
	v_fma_f64 v[17:18], v[9:10], s[24:25], v[17:18]
	v_fma_f64 v[9:10], v[9:10], s[24:25], v[33:34]
	v_add_f64_e32 v[13:14], v[13:14], v[11:12]
	v_add_f64_e32 v[21:22], v[21:22], v[11:12]
	;; [unrolled: 1-line block ×3, first 2 shown]
	v_fma_f64 v[33:34], v[5:6], s[24:25], v[27:28]
	v_fma_f64 v[39:40], v[5:6], s[24:25], v[19:20]
	;; [unrolled: 1-line block ×3, first 2 shown]
	v_add_f64_e32 v[35:36], v[15:16], v[37:38]
	v_add_f64_e32 v[41:42], v[23:24], v[37:38]
	;; [unrolled: 1-line block ×3, first 2 shown]
	v_add_f64_e64 v[27:28], v[13:14], -v[31:32]
	v_add_f64_e32 v[11:12], v[17:18], v[21:22]
	v_add_f64_e64 v[15:16], v[25:26], -v[9:10]
	v_add_f64_e32 v[19:20], v[9:10], v[25:26]
	;; [unrolled: 2-line block ×3, first 2 shown]
	v_add_f64_e32 v[25:26], v[33:34], v[35:36]
	v_add_f64_e32 v[21:22], v[39:40], v[41:42]
	v_add_f64_e64 v[17:18], v[29:30], -v[5:6]
	v_add_f64_e32 v[13:14], v[5:6], v[29:30]
	v_add_f64_e64 v[9:10], v[41:42], -v[39:40]
	v_add_f64_e64 v[5:6], v[35:36], -v[33:34]
	ds_store_b128 v71, v[1:4] offset:3584
	ds_store_b128 v0, v[25:28] offset:8192
	;; [unrolled: 1-line block ×7, first 2 shown]
.LBB0_9:
	s_wait_alu 0xfffe
	s_or_b32 exec_lo, exec_lo, s26
	global_wb scope:SCOPE_SE
	s_wait_dscnt 0x0
	s_barrier_signal -1
	s_barrier_wait -1
	global_inv scope:SCOPE_SE
	ds_load_b128 v[0:3], v71
	ds_load_b128 v[4:7], v71 offset:16128
	ds_load_b128 v[8:11], v71 offset:1792
	ds_load_b128 v[12:15], v71 offset:17920
	scratch_load_b64 v[16:17], off, off th:TH_LOAD_LU ; 8-byte Folded Reload
	v_mad_co_u64_u32 v[76:77], null, s4, v70, 0
	s_mov_b32 s0, 0x10410410
	s_mov_b32 s1, 0x3f404104
	s_mul_u64 s[8:9], s[4:5], 0x3f00
	s_movk_i32 s10, 0xc800
	s_mov_b32 s11, -1
	s_wait_loadcnt 0x0
	v_mov_b32_e32 v78, v16
	ds_load_b128 v[16:19], v71 offset:19712
	ds_load_b128 v[20:23], v71 offset:14336
	scratch_load_b128 v[99:102], off, off offset:32 th:TH_LOAD_LU ; 16-byte Folded Reload
	ds_load_b128 v[24:27], v71 offset:3584
	ds_load_b128 v[28:31], v71 offset:5376
	v_mad_co_u64_u32 v[56:57], null, s6, v78, 0
	s_wait_loadcnt_dscnt 0x7
	v_mul_f64_e32 v[58:59], v[101:102], v[2:3]
	v_mul_f64_e32 v[60:61], v[101:102], v[0:1]
	scratch_load_b128 v[101:104], off, off offset:80 th:TH_LOAD_LU ; 16-byte Folded Reload
	v_mad_co_u64_u32 v[78:79], null, s7, v78, v[57:58]
	v_fma_f64 v[58:59], v[99:100], v[0:1], v[58:59]
	v_fma_f64 v[60:61], v[99:100], v[2:3], -v[60:61]
	s_wait_alu 0xfffe
	s_mul_u64 s[6:7], s[4:5], s[10:11]
	s_delay_alu instid0(VALU_DEP_3) | instskip(SKIP_1) | instid1(VALU_DEP_1)
	v_mad_co_u64_u32 v[99:100], null, s5, v70, v[77:78]
	v_mov_b32_e32 v57, v78
	v_lshlrev_b64_e32 v[56:57], 4, v[56:57]
	s_delay_alu instid0(VALU_DEP_3)
	v_mov_b32_e32 v77, v99
	s_wait_loadcnt_dscnt 0x6
	v_mul_f64_e32 v[62:63], v[103:104], v[6:7]
	v_mul_f64_e32 v[64:65], v[103:104], v[4:5]
	scratch_load_b128 v[103:106], off, off offset:96 th:TH_LOAD_LU ; 16-byte Folded Reload
	v_fma_f64 v[62:63], v[101:102], v[4:5], v[62:63]
	v_fma_f64 v[64:65], v[101:102], v[6:7], -v[64:65]
	s_wait_loadcnt_dscnt 0x5
	v_mul_f64_e32 v[66:67], v[105:106], v[10:11]
	v_mul_f64_e32 v[68:69], v[105:106], v[8:9]
	scratch_load_b128 v[105:108], off, off offset:112 th:TH_LOAD_LU ; 16-byte Folded Reload
	ds_load_b128 v[32:35], v71 offset:21504
	ds_load_b128 v[36:39], v71 offset:7168
	;; [unrolled: 1-line block ×6, first 2 shown]
	s_clause 0x2
	scratch_load_b128 v[128:131], off, off offset:256 th:TH_LOAD_LU
	scratch_load_b128 v[112:115], off, off offset:224 th:TH_LOAD_LU
	;; [unrolled: 1-line block ×3, first 2 shown]
	v_fma_f64 v[66:67], v[103:104], v[8:9], v[66:67]
	v_fma_f64 v[68:69], v[103:104], v[10:11], -v[68:69]
	s_wait_loadcnt_dscnt 0x30a
	v_mul_f64_e32 v[72:73], v[107:108], v[14:15]
	v_mul_f64_e32 v[74:75], v[107:108], v[12:13]
	s_wait_loadcnt_dscnt 0x207
	v_mul_f64_e32 v[79:80], v[130:131], v[26:27]
	s_wait_loadcnt 0x1
	v_mul_f64_e32 v[83:84], v[114:115], v[18:19]
	v_mul_f64_e32 v[85:86], v[114:115], v[16:17]
	scratch_load_b128 v[114:117], off, off offset:240 th:TH_LOAD_LU ; 16-byte Folded Reload
	v_mul_f64_e32 v[81:82], v[130:131], v[24:25]
	s_wait_loadcnt_dscnt 0x105
	v_mul_f64_e32 v[91:92], v[136:137], v[34:35]
	v_mul_f64_e32 v[93:94], v[136:137], v[32:33]
	v_fma_f64 v[72:73], v[105:106], v[12:13], v[72:73]
	v_fma_f64 v[74:75], v[105:106], v[14:15], -v[74:75]
	s_wait_loadcnt 0x0
	v_mul_f64_e32 v[87:88], v[116:117], v[30:31]
	v_mul_f64_e32 v[89:90], v[116:117], v[28:29]
	scratch_load_b128 v[116:119], off, off offset:272 th:TH_LOAD_LU ; 16-byte Folded Reload
	ds_load_b128 v[0:3], v71 offset:10752
	ds_load_b128 v[4:7], v71 offset:12544
	;; [unrolled: 1-line block ×4, first 2 shown]
	s_clause 0x2
	scratch_load_b128 v[124:127], off, off offset:160 th:TH_LOAD_LU
	scratch_load_b128 v[120:123], off, off offset:128 th:TH_LOAD_LU
	;; [unrolled: 1-line block ×3, first 2 shown]
	v_lshlrev_b64_e32 v[70:71], 4, v[76:77]
	v_fma_f64 v[76:77], v[128:129], v[26:27], -v[81:82]
	v_mul_f64_e32 v[26:27], s[0:1], v[64:65]
	s_wait_loadcnt_dscnt 0x308
	v_mul_f64_e32 v[95:96], v[118:119], v[38:39]
	v_mul_f64_e32 v[97:98], v[118:119], v[36:37]
	v_add_co_u32 v118, vcc_lo, s2, v56
	s_wait_alu 0xfffd
	v_add_co_ci_u32_e32 v119, vcc_lo, s3, v57, vcc_lo
	v_fma_f64 v[56:57], v[128:129], v[24:25], v[79:80]
	v_fma_f64 v[78:79], v[112:113], v[16:17], v[83:84]
	v_fma_f64 v[80:81], v[112:113], v[18:19], -v[85:86]
	v_mul_f64_e32 v[16:17], s[0:1], v[58:59]
	v_mul_f64_e32 v[18:19], s[0:1], v[60:61]
	s_wait_loadcnt_dscnt 0x207
	v_mul_f64_e32 v[100:101], v[126:127], v[42:43]
	v_mul_f64_e32 v[102:103], v[126:127], v[40:41]
	scratch_load_b128 v[126:129], off, off offset:176 th:TH_LOAD_LU ; 16-byte Folded Reload
	v_fma_f64 v[82:83], v[114:115], v[28:29], v[87:88]
	v_fma_f64 v[84:85], v[114:115], v[30:31], -v[89:90]
	v_fma_f64 v[86:87], v[134:135], v[32:33], v[91:92]
	v_mul_f64_e32 v[24:25], s[0:1], v[62:63]
	v_mul_f64_e32 v[28:29], s[0:1], v[66:67]
	;; [unrolled: 1-line block ×3, first 2 shown]
	v_fma_f64 v[88:89], v[134:135], v[34:35], -v[93:94]
	v_mul_f64_e32 v[32:33], s[0:1], v[72:73]
	v_mul_f64_e32 v[34:35], s[0:1], v[74:75]
	v_add_co_u32 v70, vcc_lo, v118, v70
	s_wait_alu 0xfffd
	v_add_co_ci_u32_e32 v71, vcc_lo, v119, v71, vcc_lo
	s_wait_loadcnt_dscnt 0x105
	v_mul_f64_e32 v[108:109], v[132:133], v[50:51]
	v_add_co_u32 v92, vcc_lo, v70, s8
	s_wait_alu 0xfffd
	v_add_co_ci_u32_e32 v93, vcc_lo, s9, v71, vcc_lo
	v_mul_f64_e32 v[110:111], v[132:133], v[48:49]
	scratch_load_b128 v[132:135], off, off offset:208 th:TH_LOAD_LU ; 16-byte Folded Reload
	v_mul_f64_e32 v[104:105], v[122:123], v[46:47]
	v_mul_f64_e32 v[106:107], v[122:123], v[44:45]
	v_fma_f64 v[90:91], v[116:117], v[36:37], v[95:96]
	s_wait_alu 0xfffe
	v_add_co_u32 v96, vcc_lo, v92, s6
	v_fma_f64 v[72:73], v[116:117], v[38:39], -v[97:98]
	s_wait_alu 0xfffd
	v_add_co_ci_u32_e32 v97, vcc_lo, s7, v93, vcc_lo
	s_delay_alu instid0(VALU_DEP_3) | instskip(SKIP_2) | instid1(VALU_DEP_3)
	v_add_co_u32 v112, vcc_lo, v96, s8
	v_mul_f64_e32 v[36:37], s[0:1], v[56:57]
	s_wait_alu 0xfffd
	v_add_co_ci_u32_e32 v113, vcc_lo, s9, v97, vcc_lo
	s_clause 0x3
	global_store_b128 v[70:71], v[16:19], off
	global_store_b128 v[92:93], v[24:27], off
	;; [unrolled: 1-line block ×4, first 2 shown]
	v_mul_f64_e32 v[62:63], s[0:1], v[84:85]
	v_mul_f64_e32 v[64:65], s[0:1], v[86:87]
	v_fma_f64 v[16:17], v[124:125], v[40:41], v[100:101]
	v_fma_f64 v[18:19], v[124:125], v[42:43], -v[102:103]
	s_clause 0x1
	scratch_load_b128 v[100:103], off, off offset:144 th:TH_LOAD_LU
	scratch_load_b128 v[84:87], off, off offset:16 th:TH_LOAD_LU
	v_mul_f64_e32 v[66:67], s[0:1], v[88:89]
	v_mul_f64_e32 v[38:39], s[0:1], v[76:77]
	;; [unrolled: 1-line block ×5, first 2 shown]
	v_add_co_u32 v116, vcc_lo, v112, s6
	s_wait_alu 0xfffd
	v_add_co_ci_u32_e32 v117, vcc_lo, s7, v113, vcc_lo
	v_fma_f64 v[42:43], v[120:121], v[44:45], v[104:105]
	s_delay_alu instid0(VALU_DEP_3)
	v_add_co_u32 v40, vcc_lo, v116, s8
	v_mul_f64_e32 v[68:69], s[0:1], v[90:91]
	s_wait_alu 0xfffd
	v_add_co_ci_u32_e32 v41, vcc_lo, s9, v117, vcc_lo
	v_mul_f64_e32 v[70:71], s[0:1], v[72:73]
	v_add_co_u32 v76, vcc_lo, v40, s6
	s_wait_alu 0xfffd
	s_delay_alu instid0(VALU_DEP_3) | instskip(SKIP_1) | instid1(VALU_DEP_3)
	v_add_co_ci_u32_e32 v77, vcc_lo, s7, v41, vcc_lo
	v_fma_f64 v[46:47], v[120:121], v[46:47], -v[106:107]
	v_add_co_u32 v78, vcc_lo, v76, s8
	s_wait_alu 0xfffd
	s_delay_alu instid0(VALU_DEP_3) | instskip(SKIP_1) | instid1(VALU_DEP_3)
	v_add_co_ci_u32_e32 v79, vcc_lo, s9, v77, vcc_lo
	v_fma_f64 v[48:49], v[130:131], v[48:49], v[108:109]
	v_add_co_u32 v82, vcc_lo, v78, s6
	s_wait_alu 0xfffd
	s_delay_alu instid0(VALU_DEP_3)
	v_add_co_ci_u32_e32 v83, vcc_lo, s7, v79, vcc_lo
	v_fma_f64 v[50:51], v[130:131], v[50:51], -v[110:111]
	s_wait_loadcnt_dscnt 0x304
	v_mul_f64_e32 v[114:115], v[128:129], v[52:53]
	v_mul_f64_e32 v[98:99], v[128:129], v[54:55]
	s_wait_loadcnt_dscnt 0x203
	v_mul_f64_e32 v[94:95], v[134:135], v[0:1]
	v_mul_f64_e32 v[74:75], v[134:135], v[2:3]
	s_delay_alu instid0(VALU_DEP_4) | instskip(NEXT) | instid1(VALU_DEP_4)
	v_fma_f64 v[54:55], v[126:127], v[54:55], -v[114:115]
	v_fma_f64 v[52:53], v[126:127], v[52:53], v[98:99]
	s_wait_loadcnt_dscnt 0x102
	v_mul_f64_e32 v[24:25], v[102:103], v[6:7]
	s_wait_loadcnt_dscnt 0x1
	v_mul_f64_e32 v[28:29], v[86:87], v[10:11]
	v_mul_f64_e32 v[30:31], v[86:87], v[8:9]
	scratch_load_b128 v[86:89], off, off offset:48 th:TH_LOAD_LU ; 16-byte Folded Reload
	v_mul_f64_e32 v[26:27], v[102:103], v[4:5]
	v_fma_f64 v[80:81], v[132:133], v[2:3], -v[94:95]
	v_mul_f64_e32 v[2:3], s[0:1], v[18:19]
	v_fma_f64 v[74:75], v[132:133], v[0:1], v[74:75]
	v_mul_f64_e32 v[0:1], s[0:1], v[16:17]
	v_mul_f64_e32 v[18:19], s[0:1], v[54:55]
	;; [unrolled: 1-line block ×3, first 2 shown]
	v_fma_f64 v[24:25], v[100:101], v[4:5], v[24:25]
	v_fma_f64 v[28:29], v[84:85], v[8:9], v[28:29]
	v_fma_f64 v[30:31], v[84:85], v[10:11], -v[30:31]
	v_mul_f64_e32 v[4:5], s[0:1], v[42:43]
	v_fma_f64 v[26:27], v[100:101], v[6:7], -v[26:27]
	v_mul_f64_e32 v[6:7], s[0:1], v[46:47]
	v_mul_f64_e32 v[8:9], s[0:1], v[48:49]
	;; [unrolled: 1-line block ×3, first 2 shown]
	s_wait_loadcnt 0x0
	v_mul_f64_e32 v[32:33], v[88:89], v[22:23]
	v_mul_f64_e32 v[34:35], v[88:89], v[20:21]
	scratch_load_b128 v[88:91], off, off offset:64 th:TH_LOAD_LU ; 16-byte Folded Reload
	global_store_b128 v[116:117], v[36:39], off
	global_store_b128 v[40:41], v[56:59], off
	;; [unrolled: 1-line block ×5, first 2 shown]
	s_clause 0x1
	scratch_load_b32 v54, off, off offset:8 th:TH_LOAD_LU
	scratch_load_b32 v55, off, off offset:12 th:TH_LOAD_LU
	v_add_co_u32 v36, vcc_lo, v82, s8
	s_wait_alu 0xfffd
	v_add_co_ci_u32_e32 v37, vcc_lo, s9, v83, vcc_lo
	s_delay_alu instid0(VALU_DEP_2) | instskip(SKIP_1) | instid1(VALU_DEP_2)
	v_add_co_u32 v42, vcc_lo, v36, s6
	s_wait_alu 0xfffd
	v_add_co_ci_u32_e32 v43, vcc_lo, s7, v37, vcc_lo
	v_fma_f64 v[32:33], v[86:87], v[20:21], v[32:33]
	v_fma_f64 v[34:35], v[86:87], v[22:23], -v[34:35]
	v_mul_f64_e32 v[20:21], s[0:1], v[24:25]
	v_mul_f64_e32 v[22:23], s[0:1], v[26:27]
	;; [unrolled: 1-line block ×6, first 2 shown]
	s_wait_loadcnt_dscnt 0x200
	v_mul_f64_e32 v[44:45], v[90:91], v[14:15]
	v_mul_f64_e32 v[72:73], v[90:91], v[12:13]
	s_wait_loadcnt 0x1
	v_mad_co_u64_u32 v[48:49], null, s4, v54, 0
	s_wait_loadcnt 0x0
	v_mad_co_u64_u32 v[52:53], null, s4, v55, 0
	s_delay_alu instid0(VALU_DEP_4) | instskip(NEXT) | instid1(VALU_DEP_4)
	v_fma_f64 v[38:39], v[88:89], v[12:13], v[44:45]
	v_fma_f64 v[40:41], v[88:89], v[14:15], -v[72:73]
	v_add_co_u32 v44, vcc_lo, v42, s8
	s_wait_alu 0xfffd
	v_add_co_ci_u32_e32 v45, vcc_lo, s9, v43, vcc_lo
	v_mul_f64_e32 v[12:13], s[0:1], v[74:75]
	s_delay_alu instid0(VALU_DEP_3) | instskip(SKIP_3) | instid1(VALU_DEP_3)
	v_add_co_u32 v46, vcc_lo, v44, s6
	v_mul_f64_e32 v[14:15], s[0:1], v[80:81]
	s_wait_alu 0xfffd
	v_add_co_ci_u32_e32 v47, vcc_lo, s7, v45, vcc_lo
	v_add_co_u32 v50, vcc_lo, v46, s8
	global_store_b128 v[36:37], v[0:3], off
	global_store_b128 v[42:43], v[4:7], off
	;; [unrolled: 1-line block ×3, first 2 shown]
	s_wait_alu 0xfffd
	v_add_co_ci_u32_e32 v51, vcc_lo, s9, v47, vcc_lo
	global_store_b128 v[46:47], v[12:15], off
	global_store_b128 v[50:51], v[16:19], off
	v_mul_f64_e32 v[32:33], s[0:1], v[38:39]
	v_mul_f64_e32 v[34:35], s[0:1], v[40:41]
	v_add_co_u32 v38, vcc_lo, v50, s6
	v_mad_co_u64_u32 v[40:41], null, s5, v54, v[49:50]
	s_wait_alu 0xfffd
	v_add_co_ci_u32_e32 v39, vcc_lo, s7, v51, vcc_lo
	v_mad_co_u64_u32 v[53:54], null, s5, v55, v[53:54]
	s_delay_alu instid0(VALU_DEP_2) | instskip(NEXT) | instid1(VALU_DEP_4)
	v_mad_co_u64_u32 v[54:55], null, 0x4600, s4, v[38:39]
	v_mov_b32_e32 v49, v40
	s_delay_alu instid0(VALU_DEP_3) | instskip(NEXT) | instid1(VALU_DEP_2)
	v_lshlrev_b64_e32 v[3:4], 4, v[52:53]
	v_lshlrev_b64_e32 v[1:2], 4, v[48:49]
	s_delay_alu instid0(VALU_DEP_4) | instskip(NEXT) | instid1(VALU_DEP_1)
	v_mov_b32_e32 v0, v55
	v_mad_co_u64_u32 v[5:6], null, 0x4600, s5, v[0:1]
	v_add_co_u32 v0, vcc_lo, v118, v1
	s_wait_alu 0xfffd
	s_delay_alu instid0(VALU_DEP_4)
	v_add_co_ci_u32_e32 v1, vcc_lo, v119, v2, vcc_lo
	v_add_co_u32 v2, vcc_lo, v118, v3
	s_wait_alu 0xfffd
	v_add_co_ci_u32_e32 v3, vcc_lo, v119, v4, vcc_lo
	v_mov_b32_e32 v55, v5
	global_store_b128 v[38:39], v[20:23], off
	s_clause 0x1
	global_store_b128 v[0:1], v[24:27], off
	global_store_b128 v[2:3], v[28:31], off
	;; [unrolled: 1-line block ×3, first 2 shown]
.LBB0_10:
	s_nop 0
	s_sendmsg sendmsg(MSG_DEALLOC_VGPRS)
	s_endpgm
	.section	.rodata,"a",@progbits
	.p2align	6, 0x0
	.amdhsa_kernel bluestein_single_back_len2016_dim1_dp_op_CI_CI
		.amdhsa_group_segment_fixed_size 64512
		.amdhsa_private_segment_fixed_size 728
		.amdhsa_kernarg_size 104
		.amdhsa_user_sgpr_count 2
		.amdhsa_user_sgpr_dispatch_ptr 0
		.amdhsa_user_sgpr_queue_ptr 0
		.amdhsa_user_sgpr_kernarg_segment_ptr 1
		.amdhsa_user_sgpr_dispatch_id 0
		.amdhsa_user_sgpr_private_segment_size 0
		.amdhsa_wavefront_size32 1
		.amdhsa_uses_dynamic_stack 0
		.amdhsa_enable_private_segment 1
		.amdhsa_system_sgpr_workgroup_id_x 1
		.amdhsa_system_sgpr_workgroup_id_y 0
		.amdhsa_system_sgpr_workgroup_id_z 0
		.amdhsa_system_sgpr_workgroup_info 0
		.amdhsa_system_vgpr_workitem_id 0
		.amdhsa_next_free_vgpr 256
		.amdhsa_next_free_sgpr 28
		.amdhsa_reserve_vcc 1
		.amdhsa_float_round_mode_32 0
		.amdhsa_float_round_mode_16_64 0
		.amdhsa_float_denorm_mode_32 3
		.amdhsa_float_denorm_mode_16_64 3
		.amdhsa_fp16_overflow 0
		.amdhsa_workgroup_processor_mode 1
		.amdhsa_memory_ordered 1
		.amdhsa_forward_progress 0
		.amdhsa_round_robin_scheduling 0
		.amdhsa_exception_fp_ieee_invalid_op 0
		.amdhsa_exception_fp_denorm_src 0
		.amdhsa_exception_fp_ieee_div_zero 0
		.amdhsa_exception_fp_ieee_overflow 0
		.amdhsa_exception_fp_ieee_underflow 0
		.amdhsa_exception_fp_ieee_inexact 0
		.amdhsa_exception_int_div_zero 0
	.end_amdhsa_kernel
	.text
.Lfunc_end0:
	.size	bluestein_single_back_len2016_dim1_dp_op_CI_CI, .Lfunc_end0-bluestein_single_back_len2016_dim1_dp_op_CI_CI
                                        ; -- End function
	.section	.AMDGPU.csdata,"",@progbits
; Kernel info:
; codeLenInByte = 29228
; NumSgprs: 30
; NumVgprs: 256
; ScratchSize: 728
; MemoryBound: 0
; FloatMode: 240
; IeeeMode: 1
; LDSByteSize: 64512 bytes/workgroup (compile time only)
; SGPRBlocks: 3
; VGPRBlocks: 31
; NumSGPRsForWavesPerEU: 30
; NumVGPRsForWavesPerEU: 256
; Occupancy: 4
; WaveLimiterHint : 1
; COMPUTE_PGM_RSRC2:SCRATCH_EN: 1
; COMPUTE_PGM_RSRC2:USER_SGPR: 2
; COMPUTE_PGM_RSRC2:TRAP_HANDLER: 0
; COMPUTE_PGM_RSRC2:TGID_X_EN: 1
; COMPUTE_PGM_RSRC2:TGID_Y_EN: 0
; COMPUTE_PGM_RSRC2:TGID_Z_EN: 0
; COMPUTE_PGM_RSRC2:TIDIG_COMP_CNT: 0
	.text
	.p2alignl 7, 3214868480
	.fill 96, 4, 3214868480
	.type	__hip_cuid_66d602c19f8cf30f,@object ; @__hip_cuid_66d602c19f8cf30f
	.section	.bss,"aw",@nobits
	.globl	__hip_cuid_66d602c19f8cf30f
__hip_cuid_66d602c19f8cf30f:
	.byte	0                               ; 0x0
	.size	__hip_cuid_66d602c19f8cf30f, 1

	.ident	"AMD clang version 19.0.0git (https://github.com/RadeonOpenCompute/llvm-project roc-6.4.0 25133 c7fe45cf4b819c5991fe208aaa96edf142730f1d)"
	.section	".note.GNU-stack","",@progbits
	.addrsig
	.addrsig_sym __hip_cuid_66d602c19f8cf30f
	.amdgpu_metadata
---
amdhsa.kernels:
  - .args:
      - .actual_access:  read_only
        .address_space:  global
        .offset:         0
        .size:           8
        .value_kind:     global_buffer
      - .actual_access:  read_only
        .address_space:  global
        .offset:         8
        .size:           8
        .value_kind:     global_buffer
      - .actual_access:  read_only
        .address_space:  global
        .offset:         16
        .size:           8
        .value_kind:     global_buffer
      - .actual_access:  read_only
        .address_space:  global
        .offset:         24
        .size:           8
        .value_kind:     global_buffer
      - .actual_access:  read_only
        .address_space:  global
        .offset:         32
        .size:           8
        .value_kind:     global_buffer
      - .offset:         40
        .size:           8
        .value_kind:     by_value
      - .address_space:  global
        .offset:         48
        .size:           8
        .value_kind:     global_buffer
      - .address_space:  global
        .offset:         56
        .size:           8
        .value_kind:     global_buffer
      - .address_space:  global
        .offset:         64
        .size:           8
        .value_kind:     global_buffer
      - .address_space:  global
        .offset:         72
        .size:           8
        .value_kind:     global_buffer
      - .offset:         80
        .size:           4
        .value_kind:     by_value
      - .address_space:  global
        .offset:         88
        .size:           8
        .value_kind:     global_buffer
      - .address_space:  global
        .offset:         96
        .size:           8
        .value_kind:     global_buffer
    .group_segment_fixed_size: 64512
    .kernarg_segment_align: 8
    .kernarg_segment_size: 104
    .language:       OpenCL C
    .language_version:
      - 2
      - 0
    .max_flat_workgroup_size: 224
    .name:           bluestein_single_back_len2016_dim1_dp_op_CI_CI
    .private_segment_fixed_size: 728
    .sgpr_count:     30
    .sgpr_spill_count: 0
    .symbol:         bluestein_single_back_len2016_dim1_dp_op_CI_CI.kd
    .uniform_work_group_size: 1
    .uses_dynamic_stack: false
    .vgpr_count:     256
    .vgpr_spill_count: 181
    .wavefront_size: 32
    .workgroup_processor_mode: 1
amdhsa.target:   amdgcn-amd-amdhsa--gfx1201
amdhsa.version:
  - 1
  - 2
...

	.end_amdgpu_metadata
